;; amdgpu-corpus repo=ROCm/rocFFT kind=compiled arch=gfx1030 opt=O3
	.text
	.amdgcn_target "amdgcn-amd-amdhsa--gfx1030"
	.amdhsa_code_object_version 6
	.protected	fft_rtc_fwd_len1188_factors_6_11_2_3_3_wgs_198_tpt_66_halfLds_dp_ip_CI_unitstride_sbrr_dirReg ; -- Begin function fft_rtc_fwd_len1188_factors_6_11_2_3_3_wgs_198_tpt_66_halfLds_dp_ip_CI_unitstride_sbrr_dirReg
	.globl	fft_rtc_fwd_len1188_factors_6_11_2_3_3_wgs_198_tpt_66_halfLds_dp_ip_CI_unitstride_sbrr_dirReg
	.p2align	8
	.type	fft_rtc_fwd_len1188_factors_6_11_2_3_3_wgs_198_tpt_66_halfLds_dp_ip_CI_unitstride_sbrr_dirReg,@function
fft_rtc_fwd_len1188_factors_6_11_2_3_3_wgs_198_tpt_66_halfLds_dp_ip_CI_unitstride_sbrr_dirReg: ; @fft_rtc_fwd_len1188_factors_6_11_2_3_3_wgs_198_tpt_66_halfLds_dp_ip_CI_unitstride_sbrr_dirReg
; %bb.0:
	s_load_dwordx4 s[8:11], s[4:5], 0x0
	v_mul_u32_u24_e32 v1, 0x3e1, v0
	s_clause 0x1
	s_load_dwordx2 s[2:3], s[4:5], 0x50
	s_load_dwordx2 s[12:13], s[4:5], 0x18
	v_mov_b32_e32 v3, 0
	v_mov_b32_e32 v5, 0
	;; [unrolled: 1-line block ×3, first 2 shown]
	v_lshrrev_b32_e32 v1, 16, v1
	v_mad_u64_u32 v[1:2], null, s6, 3, v[1:2]
	v_mov_b32_e32 v2, v3
	v_mov_b32_e32 v10, v2
	;; [unrolled: 1-line block ×3, first 2 shown]
	s_waitcnt lgkmcnt(0)
	v_cmp_lt_u64_e64 s0, s[10:11], 2
	s_and_b32 vcc_lo, exec_lo, s0
	s_cbranch_vccnz .LBB0_8
; %bb.1:
	s_load_dwordx2 s[0:1], s[4:5], 0x10
	v_mov_b32_e32 v5, 0
	v_mov_b32_e32 v8, v2
	s_add_u32 s6, s12, 8
	v_mov_b32_e32 v6, 0
	v_mov_b32_e32 v7, v1
	s_addc_u32 s7, s13, 0
	s_mov_b64 s[16:17], 1
	s_waitcnt lgkmcnt(0)
	s_add_u32 s14, s0, 8
	s_addc_u32 s15, s1, 0
.LBB0_2:                                ; =>This Inner Loop Header: Depth=1
	s_load_dwordx2 s[18:19], s[14:15], 0x0
                                        ; implicit-def: $vgpr9_vgpr10
	s_mov_b32 s0, exec_lo
	s_waitcnt lgkmcnt(0)
	v_or_b32_e32 v4, s19, v8
	v_cmpx_ne_u64_e32 0, v[3:4]
	s_xor_b32 s1, exec_lo, s0
	s_cbranch_execz .LBB0_4
; %bb.3:                                ;   in Loop: Header=BB0_2 Depth=1
	v_cvt_f32_u32_e32 v2, s18
	v_cvt_f32_u32_e32 v4, s19
	s_sub_u32 s0, 0, s18
	s_subb_u32 s20, 0, s19
	v_fmac_f32_e32 v2, 0x4f800000, v4
	v_rcp_f32_e32 v2, v2
	v_mul_f32_e32 v2, 0x5f7ffffc, v2
	v_mul_f32_e32 v4, 0x2f800000, v2
	v_trunc_f32_e32 v4, v4
	v_fmac_f32_e32 v2, 0xcf800000, v4
	v_cvt_u32_f32_e32 v4, v4
	v_cvt_u32_f32_e32 v2, v2
	v_mul_lo_u32 v9, s0, v4
	v_mul_hi_u32 v10, s0, v2
	v_mul_lo_u32 v11, s20, v2
	v_add_nc_u32_e32 v9, v10, v9
	v_mul_lo_u32 v10, s0, v2
	v_add_nc_u32_e32 v9, v9, v11
	v_mul_hi_u32 v11, v2, v10
	v_mul_lo_u32 v12, v2, v9
	v_mul_hi_u32 v13, v2, v9
	v_mul_hi_u32 v14, v4, v10
	v_mul_lo_u32 v10, v4, v10
	v_mul_hi_u32 v15, v4, v9
	v_mul_lo_u32 v9, v4, v9
	v_add_co_u32 v11, vcc_lo, v11, v12
	v_add_co_ci_u32_e32 v12, vcc_lo, 0, v13, vcc_lo
	v_add_co_u32 v10, vcc_lo, v11, v10
	v_add_co_ci_u32_e32 v10, vcc_lo, v12, v14, vcc_lo
	v_add_co_ci_u32_e32 v11, vcc_lo, 0, v15, vcc_lo
	v_add_co_u32 v9, vcc_lo, v10, v9
	v_add_co_ci_u32_e32 v10, vcc_lo, 0, v11, vcc_lo
	v_add_co_u32 v2, vcc_lo, v2, v9
	v_add_co_ci_u32_e32 v4, vcc_lo, v4, v10, vcc_lo
	v_mul_hi_u32 v9, s0, v2
	v_mul_lo_u32 v11, s20, v2
	v_mul_lo_u32 v10, s0, v4
	v_add_nc_u32_e32 v9, v9, v10
	v_mul_lo_u32 v10, s0, v2
	v_add_nc_u32_e32 v9, v9, v11
	v_mul_hi_u32 v11, v2, v10
	v_mul_lo_u32 v12, v2, v9
	v_mul_hi_u32 v13, v2, v9
	v_mul_hi_u32 v14, v4, v10
	v_mul_lo_u32 v10, v4, v10
	v_mul_hi_u32 v15, v4, v9
	v_mul_lo_u32 v9, v4, v9
	v_add_co_u32 v11, vcc_lo, v11, v12
	v_add_co_ci_u32_e32 v12, vcc_lo, 0, v13, vcc_lo
	v_add_co_u32 v10, vcc_lo, v11, v10
	v_add_co_ci_u32_e32 v10, vcc_lo, v12, v14, vcc_lo
	v_add_co_ci_u32_e32 v11, vcc_lo, 0, v15, vcc_lo
	v_add_co_u32 v9, vcc_lo, v10, v9
	v_add_co_ci_u32_e32 v10, vcc_lo, 0, v11, vcc_lo
	v_add_co_u32 v2, vcc_lo, v2, v9
	v_add_co_ci_u32_e32 v4, vcc_lo, v4, v10, vcc_lo
	v_mul_hi_u32 v15, v7, v2
	v_mad_u64_u32 v[11:12], null, v8, v2, 0
	v_mad_u64_u32 v[9:10], null, v7, v4, 0
	v_mad_u64_u32 v[13:14], null, v8, v4, 0
	v_add_co_u32 v2, vcc_lo, v15, v9
	v_add_co_ci_u32_e32 v4, vcc_lo, 0, v10, vcc_lo
	v_add_co_u32 v2, vcc_lo, v2, v11
	v_add_co_ci_u32_e32 v2, vcc_lo, v4, v12, vcc_lo
	v_add_co_ci_u32_e32 v4, vcc_lo, 0, v14, vcc_lo
	v_add_co_u32 v2, vcc_lo, v2, v13
	v_add_co_ci_u32_e32 v4, vcc_lo, 0, v4, vcc_lo
	v_mul_lo_u32 v11, s19, v2
	v_mad_u64_u32 v[9:10], null, s18, v2, 0
	v_mul_lo_u32 v12, s18, v4
	v_sub_co_u32 v9, vcc_lo, v7, v9
	v_add3_u32 v10, v10, v12, v11
	v_sub_nc_u32_e32 v11, v8, v10
	v_subrev_co_ci_u32_e64 v11, s0, s19, v11, vcc_lo
	v_add_co_u32 v12, s0, v2, 2
	v_add_co_ci_u32_e64 v13, s0, 0, v4, s0
	v_sub_co_u32 v14, s0, v9, s18
	v_sub_co_ci_u32_e32 v10, vcc_lo, v8, v10, vcc_lo
	v_subrev_co_ci_u32_e64 v11, s0, 0, v11, s0
	v_cmp_le_u32_e32 vcc_lo, s18, v14
	v_cmp_eq_u32_e64 s0, s19, v10
	v_cndmask_b32_e64 v14, 0, -1, vcc_lo
	v_cmp_le_u32_e32 vcc_lo, s19, v11
	v_cndmask_b32_e64 v15, 0, -1, vcc_lo
	v_cmp_le_u32_e32 vcc_lo, s18, v9
	;; [unrolled: 2-line block ×3, first 2 shown]
	v_cndmask_b32_e64 v16, 0, -1, vcc_lo
	v_cmp_eq_u32_e32 vcc_lo, s19, v11
	v_cndmask_b32_e64 v9, v16, v9, s0
	v_cndmask_b32_e32 v11, v15, v14, vcc_lo
	v_add_co_u32 v14, vcc_lo, v2, 1
	v_add_co_ci_u32_e32 v15, vcc_lo, 0, v4, vcc_lo
	v_cmp_ne_u32_e32 vcc_lo, 0, v11
	v_cndmask_b32_e32 v10, v15, v13, vcc_lo
	v_cndmask_b32_e32 v11, v14, v12, vcc_lo
	v_cmp_ne_u32_e32 vcc_lo, 0, v9
	v_cndmask_b32_e32 v10, v4, v10, vcc_lo
	v_cndmask_b32_e32 v9, v2, v11, vcc_lo
.LBB0_4:                                ;   in Loop: Header=BB0_2 Depth=1
	s_andn2_saveexec_b32 s0, s1
	s_cbranch_execz .LBB0_6
; %bb.5:                                ;   in Loop: Header=BB0_2 Depth=1
	v_cvt_f32_u32_e32 v2, s18
	s_sub_i32 s1, 0, s18
	v_rcp_iflag_f32_e32 v2, v2
	v_mul_f32_e32 v2, 0x4f7ffffe, v2
	v_cvt_u32_f32_e32 v2, v2
	v_mul_lo_u32 v4, s1, v2
	v_mul_hi_u32 v4, v2, v4
	v_add_nc_u32_e32 v2, v2, v4
	v_mul_hi_u32 v2, v7, v2
	v_mul_lo_u32 v4, v2, s18
	v_add_nc_u32_e32 v9, 1, v2
	v_sub_nc_u32_e32 v4, v7, v4
	v_subrev_nc_u32_e32 v10, s18, v4
	v_cmp_le_u32_e32 vcc_lo, s18, v4
	v_cndmask_b32_e32 v4, v4, v10, vcc_lo
	v_cndmask_b32_e32 v2, v2, v9, vcc_lo
	v_mov_b32_e32 v10, v3
	v_cmp_le_u32_e32 vcc_lo, s18, v4
	v_add_nc_u32_e32 v9, 1, v2
	v_cndmask_b32_e32 v9, v2, v9, vcc_lo
.LBB0_6:                                ;   in Loop: Header=BB0_2 Depth=1
	s_or_b32 exec_lo, exec_lo, s0
	s_load_dwordx2 s[0:1], s[6:7], 0x0
	v_mul_lo_u32 v2, v10, s18
	v_mul_lo_u32 v4, v9, s19
	v_mad_u64_u32 v[11:12], null, v9, s18, 0
	s_add_u32 s16, s16, 1
	s_addc_u32 s17, s17, 0
	s_add_u32 s6, s6, 8
	s_addc_u32 s7, s7, 0
	;; [unrolled: 2-line block ×3, first 2 shown]
	v_add3_u32 v2, v12, v4, v2
	v_sub_co_u32 v4, vcc_lo, v7, v11
	v_sub_co_ci_u32_e32 v2, vcc_lo, v8, v2, vcc_lo
	s_waitcnt lgkmcnt(0)
	v_mul_lo_u32 v7, s1, v4
	v_mul_lo_u32 v2, s0, v2
	v_mad_u64_u32 v[5:6], null, s0, v4, v[5:6]
	v_cmp_ge_u64_e64 s0, s[16:17], s[10:11]
	s_and_b32 vcc_lo, exec_lo, s0
	v_add3_u32 v6, v7, v6, v2
	s_cbranch_vccnz .LBB0_8
; %bb.7:                                ;   in Loop: Header=BB0_2 Depth=1
	v_mov_b32_e32 v7, v9
	v_mov_b32_e32 v8, v10
	s_branch .LBB0_2
.LBB0_8:
	s_lshl_b64 s[0:1], s[10:11], 3
                                        ; implicit-def: $vgpr92_vgpr93
                                        ; implicit-def: $vgpr80_vgpr81
                                        ; implicit-def: $vgpr100_vgpr101
                                        ; implicit-def: $vgpr76_vgpr77
                                        ; implicit-def: $vgpr72_vgpr73
                                        ; implicit-def: $vgpr68_vgpr69
                                        ; implicit-def: $vgpr96_vgpr97
                                        ; implicit-def: $vgpr56_vgpr57
                                        ; implicit-def: $vgpr108_vgpr109
                                        ; implicit-def: $vgpr28_vgpr29
                                        ; implicit-def: $vgpr88_vgpr89
                                        ; implicit-def: $vgpr20_vgpr21
                                        ; implicit-def: $vgpr104_vgpr105
                                        ; implicit-def: $vgpr60_vgpr61
                                        ; implicit-def: $vgpr112_vgpr113
                                        ; implicit-def: $vgpr64_vgpr65
                                        ; implicit-def: $vgpr84_vgpr85
                                        ; implicit-def: $vgpr24_vgpr25
	s_add_u32 s0, s12, s0
	s_addc_u32 s1, s13, s1
	s_load_dwordx2 s[0:1], s[0:1], 0x0
	s_load_dwordx2 s[4:5], s[4:5], 0x20
	s_waitcnt lgkmcnt(0)
	v_mul_lo_u32 v4, s0, v10
	v_mul_lo_u32 v7, s1, v9
	v_mad_u64_u32 v[2:3], null, s0, v9, v[5:6]
	v_mul_hi_u32 v5, 0x3e0f83f, v0
	v_cmp_gt_u64_e32 vcc_lo, s[4:5], v[9:10]
	v_add3_u32 v3, v7, v3, v4
	v_mul_u32_u24_e32 v4, 0x42, v5
	v_lshlrev_b64 v[116:117], 4, v[2:3]
	v_sub_nc_u32_e32 v114, v0, v4
	s_and_saveexec_b32 s1, vcc_lo
	s_cbranch_execz .LBB0_10
; %bb.9:
	v_mov_b32_e32 v115, 0
	v_add_co_u32 v0, s0, s2, v116
	v_add_co_ci_u32_e64 v4, s0, s3, v117, s0
	v_lshlrev_b64 v[2:3], 4, v[114:115]
	v_add_co_u32 v2, s0, v0, v2
	v_add_co_ci_u32_e64 v3, s0, v4, v3, s0
	s_clause 0x1
	global_load_dwordx4 v[22:25], v[2:3], off
	global_load_dwordx4 v[18:21], v[2:3], off offset:1056
	v_add_co_u32 v4, s0, 0x800, v2
	v_add_co_ci_u32_e64 v5, s0, 0, v3, s0
	v_add_co_u32 v6, s0, 0x1800, v2
	v_add_co_ci_u32_e64 v7, s0, 0, v3, s0
	;; [unrolled: 2-line block ×6, first 2 shown]
	s_clause 0x1
	global_load_dwordx4 v[62:65], v[6:7], off offset:192
	global_load_dwordx4 v[26:29], v[6:7], off offset:1248
	v_add_co_u32 v6, s0, 0x2800, v2
	v_add_co_ci_u32_e64 v7, s0, 0, v3, s0
	v_add_co_u32 v2, s0, 0x4000, v2
	s_clause 0x1
	global_load_dwordx4 v[58:61], v[10:11], off offset:384
	global_load_dwordx4 v[54:57], v[10:11], off offset:1440
	v_add_co_ci_u32_e64 v3, s0, 0, v3, s0
	s_clause 0xb
	global_load_dwordx4 v[82:85], v[4:5], off offset:1120
	global_load_dwordx4 v[66:69], v[4:5], off offset:64
	global_load_dwordx4 v[86:89], v[14:15], off offset:128
	global_load_dwordx4 v[70:73], v[14:15], off offset:1184
	global_load_dwordx4 v[110:113], v[8:9], off offset:1312
	global_load_dwordx4 v[74:77], v[8:9], off offset:256
	global_load_dwordx4 v[106:109], v[6:7], off offset:320
	global_load_dwordx4 v[98:101], v[6:7], off offset:1376
	global_load_dwordx4 v[102:105], v[12:13], off offset:1504
	global_load_dwordx4 v[78:81], v[12:13], off offset:448
	global_load_dwordx4 v[94:97], v[2:3], off offset:512
	global_load_dwordx4 v[90:93], v[2:3], off offset:1568
.LBB0_10:
	s_or_b32 exec_lo, exec_lo, s1
	s_waitcnt vmcnt(3)
	v_add_f64 v[2:3], v[102:103], v[110:111]
	s_waitcnt vmcnt(1)
	v_add_f64 v[4:5], v[94:95], v[106:107]
	s_waitcnt vmcnt(0)
	v_add_f64 v[6:7], v[90:91], v[98:99]
	v_add_f64 v[8:9], v[104:105], v[112:113]
	v_add_f64 v[10:11], v[112:113], -v[104:105]
	v_add_f64 v[12:13], v[96:97], v[108:109]
	v_add_f64 v[14:15], v[108:109], -v[96:97]
	v_add_f64 v[16:17], v[100:101], -v[92:93]
	v_add_f64 v[30:31], v[92:93], v[100:101]
	s_mov_b32 s4, 0xe8584caa
	s_mov_b32 s5, 0x3febb67a
	;; [unrolled: 1-line block ×4, first 2 shown]
	v_add_f64 v[32:33], v[58:59], v[62:63]
	v_add_f64 v[36:37], v[110:111], -v[102:103]
	v_add_f64 v[40:41], v[110:111], v[82:83]
	v_add_f64 v[42:43], v[54:55], v[26:27]
	v_add_f64 v[44:45], v[106:107], -v[94:95]
	v_add_f64 v[46:47], v[78:79], v[74:75]
	v_add_f64 v[48:49], v[98:99], -v[90:91]
	v_add_f64 v[34:35], v[64:65], -v[60:61]
	v_add_f64 v[38:39], v[62:63], v[22:23]
	v_fma_f64 v[2:3], v[2:3], -0.5, v[82:83]
	v_fma_f64 v[4:5], v[4:5], -0.5, v[86:87]
	;; [unrolled: 1-line block ×4, first 2 shown]
	v_mul_hi_u32 v0, 0xaaaaaaab, v1
	v_lshlrev_b32_e32 v115, 3, v114
	v_cmp_gt_u32_e64 s0, 42, v114
	v_lshrrev_b32_e32 v0, 1, v0
	v_fma_f64 v[32:33], v[32:33], -0.5, v[22:23]
	v_lshl_add_u32 v0, v0, 1, v0
	v_sub_nc_u32_e32 v130, v1, v0
	v_fma_f64 v[122:123], v[10:11], s[4:5], v[2:3]
	v_fma_f64 v[110:111], v[10:11], s[6:7], v[2:3]
	v_fma_f64 v[2:3], v[12:13], -0.5, v[88:89]
	v_fma_f64 v[126:127], v[14:15], s[4:5], v[4:5]
	v_fma_f64 v[118:119], v[14:15], s[6:7], v[4:5]
	v_fma_f64 v[4:5], v[30:31], -0.5, v[72:73]
	v_fma_f64 v[124:125], v[16:17], s[4:5], v[6:7]
	v_fma_f64 v[120:121], v[16:17], s[6:7], v[6:7]
	v_add_f64 v[6:7], v[26:27], v[18:19]
	v_add_f64 v[12:13], v[106:107], v[86:87]
	;; [unrolled: 1-line block ×3, first 2 shown]
	v_fma_f64 v[70:71], v[36:37], s[6:7], v[8:9]
	v_fma_f64 v[106:107], v[36:37], s[4:5], v[8:9]
	v_add_f64 v[10:11], v[28:29], -v[56:57]
	v_add_f64 v[16:17], v[74:75], v[66:67]
	v_fma_f64 v[18:19], v[42:43], -0.5, v[18:19]
	v_add_f64 v[14:15], v[76:77], -v[80:81]
	v_fma_f64 v[42:43], v[46:47], -0.5, v[66:67]
	v_add_f64 v[0:1], v[58:59], v[38:39]
	v_add_f64 v[38:39], v[102:103], v[40:41]
	v_mul_f64 v[8:9], v[122:123], 0.5
	v_mul_f64 v[36:37], v[110:111], -0.5
	v_fma_f64 v[22:23], v[44:45], s[6:7], v[2:3]
	v_fma_f64 v[128:129], v[44:45], s[4:5], v[2:3]
	v_mul_f64 v[2:3], v[126:127], 0.5
	v_mul_f64 v[44:45], v[118:119], -0.5
	v_fma_f64 v[66:67], v[48:49], s[6:7], v[4:5]
	v_fma_f64 v[98:99], v[48:49], s[4:5], v[4:5]
	v_mul_f64 v[4:5], v[124:125], 0.5
	v_mul_f64 v[46:47], v[120:121], -0.5
	v_add_f64 v[6:7], v[54:55], v[6:7]
	v_add_f64 v[12:13], v[94:95], v[12:13]
	v_fma_f64 v[48:49], v[34:35], s[4:5], v[32:33]
	v_fma_f64 v[32:33], v[34:35], s[6:7], v[32:33]
	v_add_f64 v[16:17], v[78:79], v[16:17]
	v_add_f64 v[40:41], v[90:91], v[30:31]
	v_fma_f64 v[52:53], v[10:11], s[4:5], v[18:19]
	v_fma_f64 v[82:83], v[10:11], s[6:7], v[18:19]
	;; [unrolled: 1-line block ×4, first 2 shown]
	v_add_f64 v[10:11], v[38:39], v[0:1]
	v_fma_f64 v[8:9], v[70:71], s[4:5], v[8:9]
	v_fma_f64 v[50:51], v[106:107], s[4:5], v[36:37]
	v_add_f64 v[36:37], v[0:1], -v[38:39]
	v_mul_u32_u24_e32 v0, 6, v114
	v_fma_f64 v[2:3], v[22:23], s[4:5], v[2:3]
	v_fma_f64 v[86:87], v[128:129], s[4:5], v[44:45]
	;; [unrolled: 1-line block ×4, first 2 shown]
	v_mul_u32_u24_e32 v4, 0x4a4, v130
	v_add_f64 v[38:39], v[12:13], v[6:7]
	v_add_f64 v[44:45], v[6:7], -v[12:13]
	v_add_nc_u32_e32 v130, 0, v115
	v_add_f64 v[30:31], v[40:41], v[16:17]
	v_add_f64 v[18:19], v[16:17], -v[40:41]
	v_lshlrev_b32_e32 v132, 3, v4
	v_add_nc_u32_e32 v1, 0, v132
	v_add_f64 v[12:13], v[48:49], v[8:9]
	v_add_f64 v[34:35], v[32:33], v[50:51]
	v_add_f64 v[46:47], v[48:49], -v[8:9]
	v_add_f64 v[48:49], v[32:33], -v[50:51]
	v_add_f64 v[40:41], v[52:53], v[2:3]
	v_add_f64 v[42:43], v[82:83], v[86:87]
	v_add_f64 v[2:3], v[52:53], -v[2:3]
	v_add_f64 v[4:5], v[82:83], -v[86:87]
	;; [unrolled: 4-line block ×3, first 2 shown]
	v_add_nc_u32_e32 v131, v130, v132
	v_lshl_add_u32 v102, v0, 3, v1
	v_add_nc_u32_e32 v130, v1, v115
                                        ; implicit-def: $vgpr82_vgpr83
                                        ; implicit-def: $vgpr14_vgpr15
	ds_write_b128 v102, v[10:13]
	ds_write_b128 v102, v[34:37] offset:16
	ds_write_b128 v102, v[46:49] offset:32
	ds_write_b128 v102, v[38:41] offset:3168
	ds_write_b128 v102, v[42:45] offset:3184
	ds_write_b128 v102, v[2:5] offset:3200
	ds_write_b128 v102, v[30:33] offset:6336
	ds_write_b128 v102, v[16:19] offset:6352
	ds_write_b128 v102, v[6:9] offset:6368
	v_add_nc_u32_e32 v90, 0x800, v131
	v_add_nc_u32_e32 v91, 0x1000, v131
	;; [unrolled: 1-line block ×4, first 2 shown]
	s_waitcnt lgkmcnt(0)
	s_barrier
	buffer_gl0_inv
	ds_read_b64 v[86:87], v130
	ds_read2_b64 v[50:53], v131 offset0:108 offset1:216
	ds_read2_b64 v[42:45], v90 offset0:68 offset1:176
	;; [unrolled: 1-line block ×5, first 2 shown]
	v_add_nc_u32_e32 v115, 0xc60, v102
	v_add_nc_u32_e32 v103, 0x18c0, v102
                                        ; implicit-def: $vgpr10_vgpr11
	s_and_saveexec_b32 s1, s0
	s_cbranch_execz .LBB0_12
; %bb.11:
	v_add_nc_u32_e32 v12, 0xc00, v131
	ds_read2_b64 v[8:11], v94 offset0:74 offset1:182
	ds_read2_b64 v[0:3], v90 offset0:26 offset1:134
	;; [unrolled: 1-line block ×5, first 2 shown]
	ds_read_b64 v[82:83], v131 offset:9168
	s_waitcnt lgkmcnt(4)
	v_mov_b32_e32 v17, v3
	s_waitcnt lgkmcnt(3)
	v_mov_b32_e32 v31, v7
	v_mov_b32_e32 v33, v1
	;; [unrolled: 1-line block ×3, first 2 shown]
	s_waitcnt lgkmcnt(2)
	v_mov_b32_e32 v6, v135
	v_mov_b32_e32 v18, v133
	;; [unrolled: 1-line block ×6, first 2 shown]
.LBB0_12:
	s_or_b32 exec_lo, exec_lo, s1
	v_add_f64 v[0:1], v[60:61], v[64:65]
	v_add_f64 v[2:3], v[56:57], v[28:29]
	;; [unrolled: 1-line block ×4, first 2 shown]
	v_add_f64 v[58:59], v[62:63], -v[58:59]
	v_add_f64 v[62:63], v[112:113], v[84:85]
	v_mul_f64 v[84:85], v[122:123], s[6:7]
	v_add_f64 v[28:29], v[28:29], v[20:21]
	v_add_f64 v[88:89], v[108:109], v[88:89]
	;; [unrolled: 1-line block ×3, first 2 shown]
	v_mul_f64 v[100:101], v[106:107], -0.5
	v_add_f64 v[76:77], v[76:77], v[68:69]
	s_waitcnt lgkmcnt(0)
	s_barrier
	buffer_gl0_inv
	v_fma_f64 v[0:1], v[0:1], -0.5, v[24:25]
	v_add_f64 v[24:25], v[26:27], -v[54:55]
	v_mul_f64 v[26:27], v[126:127], s[6:7]
	v_fma_f64 v[2:3], v[2:3], -0.5, v[20:21]
	v_mul_f64 v[54:55], v[128:129], -0.5
	v_add_f64 v[20:21], v[74:75], -v[78:79]
	v_mul_f64 v[74:75], v[124:125], s[6:7]
	v_fma_f64 v[68:69], v[133:134], -0.5, v[68:69]
	v_mul_f64 v[78:79], v[98:99], -0.5
	v_add_f64 v[60:61], v[60:61], v[64:65]
	v_add_f64 v[62:63], v[104:105], v[62:63]
	v_fma_f64 v[70:71], v[70:71], 0.5, v[84:85]
	v_add_f64 v[28:29], v[56:57], v[28:29]
	v_add_f64 v[56:57], v[96:97], v[88:89]
	v_fma_f64 v[84:85], v[110:111], s[6:7], v[100:101]
	v_add_f64 v[76:77], v[80:81], v[76:77]
	v_add_f64 v[80:81], v[92:93], v[72:73]
	v_fma_f64 v[88:89], v[58:59], s[6:7], v[0:1]
	v_fma_f64 v[0:1], v[58:59], s[4:5], v[0:1]
	v_fma_f64 v[22:23], v[22:23], 0.5, v[26:27]
	v_fma_f64 v[92:93], v[24:25], s[6:7], v[2:3]
	v_fma_f64 v[54:55], v[118:119], s[6:7], v[54:55]
	;; [unrolled: 1-line block ×3, first 2 shown]
	v_fma_f64 v[96:97], v[66:67], 0.5, v[74:75]
	v_fma_f64 v[98:99], v[20:21], s[6:7], v[68:69]
	v_fma_f64 v[78:79], v[120:121], s[6:7], v[78:79]
	;; [unrolled: 1-line block ×3, first 2 shown]
	v_add_f64 v[24:25], v[62:63], v[60:61]
	v_add_f64 v[64:65], v[60:61], -v[62:63]
	v_add_f64 v[66:67], v[56:57], v[28:29]
	v_add_f64 v[72:73], v[28:29], -v[56:57]
                                        ; implicit-def: $vgpr28_vgpr29
	v_add_f64 v[58:59], v[80:81], v[76:77]
	v_add_f64 v[56:57], v[76:77], -v[80:81]
	v_add_f64 v[26:27], v[88:89], v[70:71]
	v_add_f64 v[62:63], v[0:1], v[84:85]
	v_add_f64 v[74:75], v[88:89], -v[70:71]
	v_add_f64 v[76:77], v[0:1], -v[84:85]
	v_add_f64 v[68:69], v[92:93], v[22:23]
	v_add_f64 v[70:71], v[2:3], v[54:55]
	v_add_f64 v[0:1], v[92:93], -v[22:23]
	;; [unrolled: 4-line block ×3, first 2 shown]
	v_add_f64 v[22:23], v[100:101], -v[78:79]
                                        ; implicit-def: $vgpr84_vgpr85
	ds_write_b128 v102, v[24:27]
	ds_write_b128 v102, v[62:65] offset:16
	ds_write_b128 v102, v[74:77] offset:32
	ds_write_b128 v115, v[66:69]
	ds_write_b128 v115, v[70:73] offset:16
	ds_write_b128 v115, v[0:3] offset:32
	;; [unrolled: 3-line block ×3, first 2 shown]
	s_waitcnt lgkmcnt(0)
	s_barrier
	buffer_gl0_inv
	ds_read_b64 v[0:1], v130
	ds_read2_b64 v[74:77], v131 offset0:108 offset1:216
	ds_read2_b64 v[66:69], v90 offset0:68 offset1:176
	;; [unrolled: 1-line block ×5, first 2 shown]
                                        ; implicit-def: $vgpr24_vgpr25
	s_and_saveexec_b32 s1, s0
	s_cbranch_execz .LBB0_14
; %bb.13:
	v_add_nc_u32_e32 v2, 0x1400, v131
	v_add_nc_u32_e32 v3, 0xc00, v131
	;; [unrolled: 1-line block ×3, first 2 shown]
	ds_read2_b64 v[88:91], v131 offset0:66 offset1:174
	ds_read2_b64 v[22:25], v2 offset0:74 offset1:182
	;; [unrolled: 1-line block ×4, first 2 shown]
	v_add_nc_u32_e32 v2, 0x1c00, v131
	ds_read_b64 v[84:85], v131 offset:9168
	ds_read2_b64 v[26:29], v2 offset0:34 offset1:142
	s_waitcnt lgkmcnt(5)
	v_mov_b32_e32 v58, v90
	v_mov_b32_e32 v2, v88
	s_waitcnt lgkmcnt(3)
	v_mov_b32_e32 v20, v56
	v_mov_b32_e32 v21, v57
	;; [unrolled: 1-line block ×4, first 2 shown]
	s_waitcnt lgkmcnt(2)
	v_mov_b32_e32 v54, v94
	v_mov_b32_e32 v60, v92
	;; [unrolled: 1-line block ×6, first 2 shown]
.LBB0_14:
	s_or_b32 exec_lo, exec_lo, s1
	v_and_b32_e32 v88, 0xff, v114
	v_mov_b32_e32 v96, 10
	v_add_nc_u32_e32 v120, 0x42, v114
	s_mov_b32 s18, 0xf8bb580b
	s_mov_b32 s20, 0x8eee2c13
	v_mul_lo_u16 v88, 0xab, v88
	s_mov_b32 s12, 0x43842ef
	v_and_b32_e32 v89, 0xff, v120
	s_mov_b32 s19, 0xbfe14ced
	s_mov_b32 s21, 0xbfed1bb4
	v_lshrrev_b16 v98, 10, v88
	s_mov_b32 s13, 0xbfefac9e
	v_mul_lo_u16 v99, 0xab, v89
	s_mov_b32 s4, 0x8764f0ba
	s_mov_b32 s6, 0xd9c712b6
	v_mul_lo_u16 v88, v98, 6
	s_mov_b32 s10, 0x640f44db
	v_lshrrev_b16 v122, 10, v99
	s_mov_b32 s22, 0xbb3a28a1
	s_mov_b32 s24, 0xfd768dbf
	v_sub_nc_u16 v121, v114, v88
	s_mov_b32 s5, 0x3feaeb8c
	v_mul_lo_u16 v99, v122, 6
	s_mov_b32 s7, 0x3fda9628
	s_mov_b32 s11, 0xbfc2375f
	v_mul_u32_u24_sdwa v88, v121, v96 dst_sel:DWORD dst_unused:UNUSED_PAD src0_sel:BYTE_0 src1_sel:DWORD
	s_mov_b32 s23, 0xbfe82f19
	v_sub_nc_u16 v115, v120, v99
	s_mov_b32 s25, 0xbfd207e7
	s_mov_b32 s29, 0x3fd207e7
	v_lshlrev_b32_e32 v97, 4, v88
	s_mov_b32 s31, 0x3fefac9e
	v_mul_u32_u24_sdwa v96, v115, v96 dst_sel:DWORD dst_unused:UNUSED_PAD src0_sel:BYTE_0 src1_sel:DWORD
	s_mov_b32 s35, 0x3fe14ced
	s_mov_b32 s28, s24
	s_clause 0x5
	global_load_dwordx4 v[88:91], v97, s[8:9]
	global_load_dwordx4 v[92:95], v97, s[8:9] offset:144
	global_load_dwordx4 v[100:103], v97, s[8:9] offset:16
	;; [unrolled: 1-line block ×5, first 2 shown]
	v_lshlrev_b32_e32 v99, 4, v96
	s_clause 0x7
	global_load_dwordx4 v[137:140], v97, s[8:9] offset:112
	global_load_dwordx4 v[141:144], v97, s[8:9] offset:64
	;; [unrolled: 1-line block ×4, first 2 shown]
	global_load_dwordx4 v[153:156], v99, s[8:9]
	global_load_dwordx4 v[157:160], v99, s[8:9] offset:16
	global_load_dwordx4 v[161:164], v99, s[8:9] offset:32
	;; [unrolled: 1-line block ×3, first 2 shown]
	s_mov_b32 s30, s12
	s_mov_b32 s34, s18
	s_mov_b32 s14, 0x7f775887
	s_mov_b32 s16, 0x9bcd5057
	s_mov_b32 s15, 0xbfe4f49e
	s_mov_b32 s17, 0xbfeeb42a
	s_mov_b32 s27, 0x3fed1bb4
	s_mov_b32 s26, s20
	v_and_b32_e32 v129, 0xffff, v98
	s_waitcnt vmcnt(13) lgkmcnt(4)
	v_mul_f64 v[96:97], v[74:75], v[90:91]
	v_mul_f64 v[90:91], v[50:51], v[90:91]
	s_waitcnt vmcnt(12)
	v_mul_f64 v[104:105], v[48:49], v[94:95]
	s_waitcnt vmcnt(11)
	;; [unrolled: 2-line block ×3, first 2 shown]
	v_mul_f64 v[112:113], v[46:47], v[110:111]
	v_mul_f64 v[118:119], v[76:77], v[102:103]
	s_waitcnt vmcnt(9) lgkmcnt(3)
	v_mul_f64 v[127:128], v[66:67], v[125:126]
	s_waitcnt lgkmcnt(0)
	v_mul_f64 v[179:180], v[78:79], v[110:111]
	v_mul_f64 v[181:182], v[80:81], v[94:95]
	;; [unrolled: 1-line block ×3, first 2 shown]
	s_waitcnt vmcnt(8)
	v_mul_f64 v[169:170], v[68:69], v[135:136]
	v_mul_f64 v[135:136], v[44:45], v[135:136]
	s_waitcnt vmcnt(7)
	v_mul_f64 v[171:172], v[40:41], v[139:140]
	s_waitcnt vmcnt(6)
	v_mul_f64 v[173:174], v[62:63], v[143:144]
	v_mul_f64 v[143:144], v[34:35], v[143:144]
	s_waitcnt vmcnt(5)
	v_mul_f64 v[175:176], v[64:65], v[147:148]
	;; [unrolled: 3-line block ×3, first 2 shown]
	v_fma_f64 v[110:111], v[50:51], v[88:89], -v[96:97]
	v_fma_f64 v[102:103], v[74:75], v[88:89], v[90:91]
	v_fma_f64 v[50:51], v[80:81], v[92:93], v[104:105]
	v_mul_f64 v[80:81], v[72:73], v[139:140]
	v_mul_f64 v[88:89], v[70:71], v[151:152]
	v_fma_f64 v[104:105], v[76:77], v[100:101], v[106:107]
	s_waitcnt vmcnt(3)
	v_mul_f64 v[76:77], v[58:59], v[155:156]
	v_mul_f64 v[139:140], v[30:31], v[155:156]
	v_fma_f64 v[74:75], v[78:79], v[108:109], v[112:113]
	s_waitcnt vmcnt(2)
	v_mul_f64 v[78:79], v[60:61], v[159:160]
	v_mul_f64 v[112:113], v[32:33], v[159:160]
	v_fma_f64 v[106:107], v[52:53], v[100:101], -v[118:119]
	s_waitcnt vmcnt(1)
	v_mul_f64 v[155:156], v[16:17], v[163:164]
	s_waitcnt vmcnt(0)
	v_mul_f64 v[159:160], v[56:57], v[167:168]
	v_fma_f64 v[96:97], v[42:43], v[123:124], -v[127:128]
	v_fma_f64 v[118:119], v[48:49], v[92:93], -v[181:182]
	v_mul_f64 v[151:152], v[54:55], v[163:164]
	v_fma_f64 v[94:95], v[66:67], v[123:124], v[125:126]
	v_fma_f64 v[66:67], v[72:73], v[137:138], v[171:172]
	v_mul_f64 v[163:164], v[18:19], v[167:168]
	v_fma_f64 v[72:73], v[68:69], v[133:134], v[135:136]
	v_fma_f64 v[68:69], v[70:71], v[149:150], v[177:178]
	v_fma_f64 v[108:109], v[46:47], v[108:109], -v[179:180]
	v_fma_f64 v[70:71], v[62:63], v[141:142], v[143:144]
	v_add_f64 v[127:128], v[102:103], -v[50:51]
	v_fma_f64 v[100:101], v[40:41], v[137:138], -v[80:81]
	v_fma_f64 v[92:93], v[38:39], v[149:150], -v[88:89]
	;; [unrolled: 1-line block ×4, first 2 shown]
	v_fma_f64 v[34:35], v[64:65], v[145:146], v[147:148]
	v_add_f64 v[62:63], v[104:105], -v[74:75]
	v_fma_f64 v[52:53], v[58:59], v[153:154], v[139:140]
	v_fma_f64 v[90:91], v[44:45], v[133:134], -v[169:170]
	v_fma_f64 v[48:49], v[30:31], v[153:154], -v[76:77]
	v_fma_f64 v[36:37], v[54:55], v[161:162], v[155:156]
	v_fma_f64 v[46:47], v[18:19], v[165:166], -v[159:160]
	v_fma_f64 v[44:45], v[32:33], v[157:158], -v[78:79]
	v_add_f64 v[18:19], v[110:111], v[118:119]
	v_fma_f64 v[42:43], v[60:61], v[157:158], v[112:113]
	v_fma_f64 v[38:39], v[16:17], v[161:162], -v[151:152]
	v_add_f64 v[30:31], v[94:95], -v[66:67]
	v_fma_f64 v[40:41], v[56:57], v[165:166], v[163:164]
	s_clause 0x1
	global_load_dwordx4 v[123:126], v99, s[8:9] offset:64
	global_load_dwordx4 v[133:136], v99, s[8:9] offset:80
	v_add_f64 v[16:17], v[72:73], -v[68:69]
	v_add_f64 v[32:33], v[106:107], v[108:109]
	v_mul_f64 v[54:55], v[127:128], s[18:19]
	v_mul_f64 v[58:59], v[127:128], s[20:21]
	v_mul_f64 v[64:65], v[127:128], s[12:13]
	v_mul_f64 v[76:77], v[127:128], s[22:23]
	v_mul_f64 v[78:79], v[127:128], s[24:25]
	v_add_f64 v[56:57], v[96:97], v[100:101]
	v_mul_f64 v[112:113], v[62:63], s[20:21]
	v_mul_f64 v[127:128], v[62:63], s[22:23]
	v_mul_f64 v[137:138], v[62:63], s[28:29]
	v_mul_f64 v[139:140], v[62:63], s[30:31]
	v_mul_f64 v[62:63], v[62:63], s[34:35]
	;; [unrolled: 6-line block ×3, first 2 shown]
	v_mul_f64 v[149:150], v[16:17], s[22:23]
	v_fma_f64 v[157:158], v[18:19], s[4:5], -v[54:55]
	v_fma_f64 v[54:55], v[18:19], s[4:5], v[54:55]
	v_fma_f64 v[159:160], v[18:19], s[6:7], -v[58:59]
	v_fma_f64 v[58:59], v[18:19], s[6:7], v[58:59]
	v_fma_f64 v[161:162], v[18:19], s[10:11], -v[64:65]
	v_mul_f64 v[151:152], v[16:17], s[30:31]
	v_mul_f64 v[153:154], v[16:17], s[18:19]
	;; [unrolled: 1-line block ×4, first 2 shown]
	v_fma_f64 v[167:168], v[32:33], s[6:7], -v[112:113]
	v_fma_f64 v[112:113], v[32:33], s[6:7], v[112:113]
	v_fma_f64 v[169:170], v[32:33], s[14:15], -v[127:128]
	v_fma_f64 v[127:128], v[32:33], s[14:15], v[127:128]
	;; [unrolled: 2-line block ×5, first 2 shown]
	v_fma_f64 v[64:65], v[18:19], s[10:11], v[64:65]
	v_fma_f64 v[163:164], v[18:19], s[14:15], -v[76:77]
	v_fma_f64 v[76:77], v[18:19], s[14:15], v[76:77]
	v_add_f64 v[32:33], v[86:87], v[157:158]
	v_add_f64 v[54:55], v[86:87], v[54:55]
	;; [unrolled: 1-line block ×5, first 2 shown]
	v_fma_f64 v[165:166], v[18:19], s[16:17], -v[78:79]
	v_fma_f64 v[78:79], v[18:19], s[16:17], v[78:79]
	v_fma_f64 v[181:182], v[56:57], s[10:11], -v[141:142]
	v_fma_f64 v[141:142], v[56:57], s[10:11], v[141:142]
	;; [unrolled: 2-line block ×11, first 2 shown]
	global_load_dwordx4 v[16:19], v99, s[8:9] offset:96
	v_add_f64 v[167:168], v[167:168], v[32:33]
	global_load_dwordx4 v[30:33], v99, s[8:9] offset:112
	v_add_f64 v[112:113], v[112:113], v[54:55]
	v_add_f64 v[169:170], v[169:170], v[137:138]
	;; [unrolled: 1-line block ×3, first 2 shown]
	global_load_dwordx4 v[54:57], v99, s[8:9] offset:128
	v_add_f64 v[127:128], v[171:172], v[139:140]
	global_load_dwordx4 v[137:140], v99, s[8:9] offset:144
	v_add_f64 v[64:65], v[86:87], v[64:65]
	v_add_f64 v[163:164], v[86:87], v[163:164]
	;; [unrolled: 1-line block ×6, first 2 shown]
	v_add_f64 v[171:172], v[70:71], -v[34:35]
	s_waitcnt vmcnt(0)
	s_barrier
	buffer_gl0_inv
	v_add_f64 v[167:168], v[181:182], v[167:168]
	v_add_f64 v[112:113], v[141:142], v[112:113]
	;; [unrolled: 1-line block ×11, first 2 shown]
	v_mul_f64 v[78:79], v[171:172], s[22:23]
	v_add_f64 v[76:77], v[177:178], v[76:77]
	v_mul_f64 v[175:176], v[171:172], s[24:25]
	v_mul_f64 v[177:178], v[171:172], s[34:35]
	;; [unrolled: 1-line block ×4, first 2 shown]
	v_add_f64 v[149:150], v[149:150], v[112:113]
	v_add_f64 v[161:162], v[161:162], v[169:170]
	;; [unrolled: 1-line block ×8, first 2 shown]
	v_fma_f64 v[183:184], v[173:174], s[14:15], -v[78:79]
	v_fma_f64 v[185:186], v[173:174], s[14:15], v[78:79]
	v_add_f64 v[78:79], v[157:158], v[163:164]
	v_add_f64 v[76:77], v[147:148], v[76:77]
	v_fma_f64 v[181:182], v[173:174], s[16:17], -v[175:176]
	v_fma_f64 v[175:176], v[173:174], s[16:17], v[175:176]
	v_fma_f64 v[143:144], v[173:174], s[4:5], -v[177:178]
	v_fma_f64 v[177:178], v[173:174], s[4:5], v[177:178]
	;; [unrolled: 2-line block ×4, first 2 shown]
	v_add_f64 v[165:166], v[189:190], v[167:168]
	v_add_f64 v[153:154], v[153:154], v[64:65]
	;; [unrolled: 1-line block ×12, first 2 shown]
	v_mul_f64 v[173:174], v[20:21], v[125:126]
	v_mul_f64 v[125:126], v[6:7], v[125:126]
	;; [unrolled: 1-line block ×4, first 2 shown]
	v_fma_f64 v[76:77], v[6:7], v[123:124], -v[173:174]
	v_fma_f64 v[64:65], v[20:21], v[123:124], v[125:126]
	v_fma_f64 v[78:79], v[8:9], v[133:134], -v[141:142]
	v_fma_f64 v[62:63], v[22:23], v[133:134], v[135:136]
	v_add_f64 v[21:22], v[171:172], v[189:190]
	v_add_f64 v[7:8], v[181:182], v[165:166]
	v_mov_b32_e32 v6, 3
	v_mul_f64 v[145:146], v[24:25], v[18:19]
	v_mul_f64 v[18:19], v[10:11], v[18:19]
	;; [unrolled: 1-line block ×8, first 2 shown]
	v_fma_f64 v[86:87], v[10:11], v[16:17], -v[145:146]
	v_fma_f64 v[60:61], v[24:25], v[16:17], v[18:19]
	v_fma_f64 v[98:99], v[12:13], v[30:31], -v[167:168]
	v_fma_f64 v[58:59], v[26:27], v[30:31], v[32:33]
	v_add_f64 v[9:10], v[143:144], v[161:162]
	v_add_f64 v[19:20], v[147:148], v[159:160]
	v_fma_f64 v[112:113], v[14:15], v[54:55], -v[169:170]
	v_fma_f64 v[54:55], v[28:29], v[54:55], v[56:57]
	v_fma_f64 v[82:83], v[82:83], v[137:138], -v[187:188]
	v_add_f64 v[13:14], v[183:184], v[127:128]
	v_fma_f64 v[56:57], v[84:85], v[137:138], v[139:140]
	v_add_f64 v[15:16], v[157:158], v[179:180]
	v_add_f64 v[17:18], v[163:164], v[155:156]
	;; [unrolled: 1-line block ×6, first 2 shown]
	v_mad_u32_u24 v29, 0x210, v129, 0
	v_lshlrev_b32_sdwa v30, v6, v121 dst_sel:DWORD dst_unused:UNUSED_PAD src0_sel:DWORD src1_sel:BYTE_0
	v_and_b32_e32 v84, 0xffff, v122
	v_add3_u32 v85, v29, v30, v132
	ds_write2_b64 v85, v[9:10], v[13:14] offset0:12 offset1:18
	ds_write2_b64 v85, v[15:16], v[19:20] offset0:24 offset1:30
	;; [unrolled: 1-line block ×4, first 2 shown]
	ds_write2_b64 v85, v[25:26], v[7:8] offset1:6
	ds_write_b64 v85, v[27:28] offset:480
	s_and_saveexec_b32 s1, s0
	s_cbranch_execz .LBB0_16
; %bb.15:
	v_add_f64 v[7:8], v[4:5], v[48:49]
	v_add_f64 v[11:12], v[52:53], -v[56:57]
	v_add_f64 v[17:18], v[42:43], -v[54:55]
	v_add_f64 v[27:28], v[48:49], v[82:83]
	v_add_f64 v[15:16], v[36:37], -v[58:59]
	v_add_f64 v[25:26], v[44:45], v[112:113]
	;; [unrolled: 2-line block ×4, first 2 shown]
	v_add_f64 v[19:20], v[76:77], v[78:79]
	v_lshlrev_b32_sdwa v6, v6, v115 dst_sel:DWORD dst_unused:UNUSED_PAD src0_sel:DWORD src1_sel:BYTE_0
	v_add_f64 v[7:8], v[7:8], v[44:45]
	v_mul_f64 v[31:32], v[11:12], s[24:25]
	v_mul_f64 v[123:124], v[11:12], s[22:23]
	;; [unrolled: 1-line block ×21, first 2 shown]
	v_add_f64 v[7:8], v[7:8], v[38:39]
	v_fma_f64 v[161:162], v[27:28], s[16:17], v[31:32]
	v_fma_f64 v[31:32], v[27:28], s[16:17], -v[31:32]
	v_fma_f64 v[163:164], v[27:28], s[14:15], v[123:124]
	v_fma_f64 v[123:124], v[27:28], s[14:15], -v[123:124]
	v_fma_f64 v[165:166], v[27:28], s[10:11], -v[127:128]
	;; [unrolled: 1-line block ×3, first 2 shown]
	v_fma_f64 v[127:128], v[27:28], s[10:11], v[127:128]
	v_fma_f64 v[133:134], v[27:28], s[6:7], v[133:134]
	v_fma_f64 v[169:170], v[27:28], s[4:5], -v[11:12]
	v_fma_f64 v[11:12], v[27:28], s[4:5], v[11:12]
	v_fma_f64 v[27:28], v[25:26], s[4:5], v[135:136]
	v_fma_f64 v[135:136], v[25:26], s[4:5], -v[135:136]
	v_fma_f64 v[171:172], v[25:26], s[10:11], v[143:144]
	v_fma_f64 v[143:144], v[25:26], s[10:11], -v[143:144]
	;; [unrolled: 2-line block ×5, first 2 shown]
	v_fma_f64 v[179:180], v[23:24], s[6:7], v[149:150]
	v_add_f64 v[7:8], v[7:8], v[46:47]
	v_add_f64 v[25:26], v[4:5], v[161:162]
	;; [unrolled: 1-line block ×11, first 2 shown]
	v_mul_f64 v[11:12], v[13:14], s[22:23]
	v_fma_f64 v[13:14], v[23:24], s[14:15], v[125:126]
	v_fma_f64 v[125:126], v[23:24], s[14:15], -v[125:126]
	v_fma_f64 v[169:170], v[23:24], s[4:5], v[141:142]
	v_fma_f64 v[141:142], v[23:24], s[4:5], -v[141:142]
	v_fma_f64 v[149:150], v[23:24], s[6:7], -v[149:150]
	v_fma_f64 v[181:182], v[23:24], s[16:17], v[159:160]
	v_fma_f64 v[159:160], v[23:24], s[16:17], -v[159:160]
	v_fma_f64 v[183:184], v[23:24], s[10:11], v[15:16]
	v_fma_f64 v[15:16], v[23:24], s[10:11], -v[15:16]
	v_mul_f64 v[145:146], v[9:10], s[22:23]
	v_add_f64 v[7:8], v[7:8], v[76:77]
	v_add_f64 v[23:24], v[27:28], v[25:26]
	v_add_f64 v[25:26], v[135:136], v[31:32]
	v_add_f64 v[27:28], v[171:172], v[161:162]
	v_add_f64 v[31:32], v[143:144], v[123:124]
	v_add_f64 v[123:124], v[151:152], v[163:164]
	v_add_f64 v[135:136], v[155:156], v[165:166]
	v_add_f64 v[127:128], v[173:174], v[127:128]
	v_add_f64 v[133:134], v[175:176], v[133:134]
	v_add_f64 v[17:18], v[17:18], v[167:168]
	v_add_f64 v[4:5], v[177:178], v[4:5]
	v_mul_f64 v[153:154], v[9:10], s[34:35]
	v_mul_f64 v[9:10], v[9:10], s[24:25]
	v_fma_f64 v[143:144], v[21:22], s[6:7], v[121:122]
	v_fma_f64 v[121:122], v[21:22], s[6:7], -v[121:122]
	v_fma_f64 v[151:152], v[21:22], s[16:17], v[139:140]
	v_fma_f64 v[139:140], v[21:22], s[16:17], -v[139:140]
	;; [unrolled: 2-line block ×4, first 2 shown]
	v_fma_f64 v[163:164], v[21:22], s[14:15], v[11:12]
	v_add_f64 v[7:8], v[7:8], v[78:79]
	v_fma_f64 v[11:12], v[21:22], s[14:15], -v[11:12]
	v_add_f64 v[13:14], v[13:14], v[23:24]
	v_add_f64 v[21:22], v[125:126], v[25:26]
	;; [unrolled: 1-line block ×10, first 2 shown]
	v_fma_f64 v[17:18], v[19:20], s[10:11], v[29:30]
	v_fma_f64 v[29:30], v[19:20], s[10:11], -v[29:30]
	v_fma_f64 v[127:128], v[19:20], s[6:7], v[137:138]
	v_fma_f64 v[133:134], v[19:20], s[6:7], -v[137:138]
	;; [unrolled: 2-line block ×5, first 2 shown]
	v_add_f64 v[7:8], v[7:8], v[86:87]
	v_add_f64 v[13:14], v[143:144], v[13:14]
	;; [unrolled: 1-line block ×22, first 2 shown]
	v_mad_u32_u24 v11, 0x210, v84, 0
	v_add3_u32 v6, v11, v6, v132
	v_add_f64 v[7:8], v[7:8], v[112:113]
	v_add_f64 v[7:8], v[7:8], v[82:83]
	ds_write2_b64 v6, v[23:24], v[21:22] offset0:12 offset1:18
	ds_write2_b64 v6, v[19:20], v[15:16] offset0:24 offset1:30
	;; [unrolled: 1-line block ×4, first 2 shown]
	ds_write2_b64 v6, v[7:8], v[9:10] offset1:6
	ds_write_b64 v6, v[4:5] offset:480
.LBB0_16:
	s_or_b32 exec_lo, exec_lo, s1
	v_add_f64 v[4:5], v[0:1], v[102:103]
	v_add_f64 v[8:9], v[110:111], -v[118:119]
	v_add_f64 v[10:11], v[106:107], -v[108:109]
	v_add_f64 v[12:13], v[102:103], v[50:51]
	v_add_f64 v[28:29], v[80:81], -v[88:89]
	v_add_f64 v[24:25], v[90:91], -v[92:93]
	v_add_f64 v[14:15], v[104:105], v[74:75]
	v_add_f64 v[18:19], v[96:97], -v[100:101]
	v_add_f64 v[20:21], v[94:95], v[66:67]
	v_add_f64 v[22:23], v[72:73], v[68:69]
	;; [unrolled: 1-line block ×3, first 2 shown]
	v_add_nc_u32_e32 v80, 0x1000, v131
	s_waitcnt lgkmcnt(0)
	s_barrier
	buffer_gl0_inv
	v_add_f64 v[4:5], v[4:5], v[104:105]
	v_mul_f64 v[30:31], v[8:9], s[18:19]
	v_mul_f64 v[32:33], v[8:9], s[20:21]
	;; [unrolled: 1-line block ×18, first 2 shown]
	v_add_f64 v[16:17], v[4:5], v[94:95]
	v_mul_f64 v[94:95], v[10:11], s[22:23]
	v_mul_f64 v[10:11], v[10:11], s[34:35]
	v_fma_f64 v[127:128], v[12:13], s[4:5], v[30:31]
	v_fma_f64 v[133:134], v[12:13], s[6:7], v[32:33]
	v_fma_f64 v[32:33], v[12:13], s[6:7], -v[32:33]
	v_fma_f64 v[135:136], v[12:13], s[10:11], v[88:89]
	v_fma_f64 v[137:138], v[12:13], s[14:15], v[90:91]
	v_fma_f64 v[90:91], v[12:13], s[14:15], -v[90:91]
	v_fma_f64 v[139:140], v[12:13], s[16:17], v[8:9]
	v_fma_f64 v[8:9], v[12:13], s[16:17], -v[8:9]
	v_fma_f64 v[88:89], v[12:13], s[10:11], -v[88:89]
	v_fma_f64 v[12:13], v[12:13], s[4:5], -v[30:31]
	v_fma_f64 v[143:144], v[14:15], s[16:17], v[96:97]
	v_fma_f64 v[96:97], v[14:15], s[16:17], -v[96:97]
	v_fma_f64 v[145:146], v[14:15], s[10:11], v[100:101]
	v_fma_f64 v[100:101], v[14:15], s[10:11], -v[100:101]
	;; [unrolled: 2-line block ×4, first 2 shown]
	v_mul_f64 v[30:31], v[28:29], s[22:23]
	v_add_f64 v[16:17], v[16:17], v[72:73]
	v_mul_f64 v[72:73], v[18:19], s[12:13]
	v_mul_f64 v[18:19], v[18:19], s[22:23]
	v_fma_f64 v[141:142], v[14:15], s[14:15], v[94:95]
	v_fma_f64 v[94:95], v[14:15], s[14:15], -v[94:95]
	v_fma_f64 v[147:148], v[14:15], s[4:5], v[10:11]
	v_fma_f64 v[10:11], v[14:15], s[4:5], -v[10:11]
	v_add_f64 v[32:33], v[0:1], v[32:33]
	v_add_f64 v[90:91], v[0:1], v[90:91]
	ds_read2_b64 v[4:7], v131 offset0:66 offset1:132
	v_add_f64 v[8:9], v[0:1], v[8:9]
	v_add_f64 v[88:89], v[0:1], v[88:89]
	;; [unrolled: 1-line block ×3, first 2 shown]
	v_fma_f64 v[70:71], v[14:15], s[6:7], v[92:93]
	v_fma_f64 v[92:93], v[14:15], s[6:7], -v[92:93]
	v_add_f64 v[14:15], v[0:1], v[127:128]
	v_add_f64 v[127:128], v[0:1], v[133:134]
	;; [unrolled: 1-line block ×6, first 2 shown]
	v_fma_f64 v[139:140], v[20:21], s[16:17], v[102:103]
	v_fma_f64 v[102:103], v[20:21], s[16:17], -v[102:103]
	v_fma_f64 v[153:154], v[20:21], s[14:15], v[18:19]
	v_fma_f64 v[18:19], v[20:21], s[14:15], -v[18:19]
	v_add_f64 v[32:33], v[94:95], v[32:33]
	v_add_f64 v[90:91], v[100:101], v[90:91]
	;; [unrolled: 1-line block ×4, first 2 shown]
	v_fma_f64 v[88:89], v[22:23], s[14:15], v[108:109]
	v_fma_f64 v[96:97], v[22:23], s[10:11], v[110:111]
	v_mul_f64 v[12:13], v[28:29], s[26:27]
	v_mul_f64 v[28:29], v[28:29], s[12:13]
	v_add_f64 v[16:17], v[16:17], v[34:35]
	v_fma_f64 v[34:35], v[20:21], s[10:11], v[72:73]
	v_fma_f64 v[72:73], v[20:21], s[10:11], -v[72:73]
	v_add_f64 v[14:15], v[70:71], v[14:15]
	v_add_f64 v[20:21], v[141:142], v[127:128]
	;; [unrolled: 1-line block ×6, first 2 shown]
	v_fma_f64 v[92:93], v[22:23], s[14:15], -v[108:109]
	v_fma_f64 v[108:109], v[22:23], s[10:11], -v[110:111]
	v_fma_f64 v[110:111], v[22:23], s[4:5], v[118:119]
	v_fma_f64 v[118:119], v[22:23], s[4:5], -v[118:119]
	v_fma_f64 v[127:128], v[22:23], s[16:17], v[121:122]
	;; [unrolled: 2-line block ×3, first 2 shown]
	v_fma_f64 v[22:23], v[22:23], s[6:7], -v[24:25]
	v_add_f64 v[24:25], v[102:103], v[32:33]
	v_add_f64 v[8:9], v[18:19], v[8:9]
	;; [unrolled: 1-line block ×3, first 2 shown]
	v_fma_f64 v[104:105], v[26:27], s[14:15], v[30:31]
	v_fma_f64 v[18:19], v[26:27], s[16:17], v[123:124]
	v_add_f64 v[16:17], v[16:17], v[68:69]
	v_fma_f64 v[102:103], v[26:27], s[4:5], -v[125:126]
	v_fma_f64 v[135:136], v[26:27], s[10:11], -v[28:29]
	v_add_f64 v[14:15], v[34:35], v[14:15]
	v_add_f64 v[20:21], v[139:140], v[20:21]
	;; [unrolled: 1-line block ×7, first 2 shown]
	v_fma_f64 v[100:101], v[26:27], s[4:5], v[125:126]
	v_fma_f64 v[94:95], v[26:27], s[16:17], -v[123:124]
	v_fma_f64 v[123:124], v[26:27], s[6:7], v[12:13]
	v_fma_f64 v[12:13], v[26:27], s[6:7], -v[12:13]
	;; [unrolled: 2-line block ×3, first 2 shown]
	v_add_nc_u32_e32 v68, 0x1400, v131
	v_add_nc_u32_e32 v73, 0x800, v131
	;; [unrolled: 1-line block ×3, first 2 shown]
	v_add_f64 v[118:119], v[118:119], v[10:11]
	v_add_nc_u32_e32 v71, 0x1800, v131
	v_add_f64 v[16:17], v[16:17], v[66:67]
	v_add_f64 v[14:15], v[88:89], v[14:15]
	;; [unrolled: 1-line block ×9, first 2 shown]
	v_add_nc_u32_e32 v69, 0x400, v131
	v_add_nc_u32_e32 v70, 0xc00, v131
	v_add_f64 v[106:107], v[106:107], v[118:119]
	v_add_f64 v[16:17], v[16:17], v[74:75]
	;; [unrolled: 1-line block ×3, first 2 shown]
	ds_read_b64 v[0:1], v130
	ds_read_b64 v[66:67], v131 offset:8976
	ds_read2_b64 v[24:27], v80 offset0:82 offset1:148
	ds_read2_b64 v[20:23], v68 offset0:86 offset1:152
	;; [unrolled: 1-line block ×4, first 2 shown]
	v_add_f64 v[92:93], v[18:19], v[14:15]
	v_add_f64 v[88:89], v[100:101], v[88:89]
	;; [unrolled: 1-line block ×9, first 2 shown]
	ds_read2_b64 v[12:15], v73 offset0:74 offset1:140
	ds_read2_b64 v[32:35], v72 offset0:94 offset1:160
	;; [unrolled: 1-line block ×3, first 2 shown]
	v_add_f64 v[74:75], v[94:95], v[74:75]
	s_waitcnt lgkmcnt(0)
	s_barrier
	buffer_gl0_inv
	ds_write2_b64 v85, v[88:89], v[100:101] offset0:12 offset1:18
	ds_write2_b64 v85, v[102:103], v[90:91] offset0:24 offset1:30
	;; [unrolled: 1-line block ×4, first 2 shown]
	ds_write2_b64 v85, v[50:51], v[92:93] offset1:6
	ds_write_b64 v85, v[74:75] offset:480
	s_and_saveexec_b32 s26, s0
	s_cbranch_execz .LBB0_18
; %bb.17:
	v_add_f64 v[50:51], v[2:3], v[52:53]
	v_add_f64 v[48:49], v[48:49], -v[82:83]
	s_mov_b32 s16, 0xf8bb580b
	s_mov_b32 s18, 0x43842ef
	;; [unrolled: 1-line block ×10, first 2 shown]
	v_add_f64 v[52:53], v[52:53], v[56:57]
	v_add_f64 v[44:45], v[44:45], -v[112:113]
	v_add_f64 v[46:47], v[46:47], -v[86:87]
	;; [unrolled: 1-line block ×3, first 2 shown]
	v_add_f64 v[74:75], v[40:41], v[60:61]
	s_mov_b32 s0, 0x8764f0ba
	s_mov_b32 s4, 0xd9c712b6
	;; [unrolled: 1-line block ×5, first 2 shown]
	v_add_f64 v[50:51], v[50:51], v[42:43]
	v_mul_f64 v[78:79], v[48:49], s[16:17]
	v_mul_f64 v[85:86], v[48:49], s[10:11]
	;; [unrolled: 1-line block ×5, first 2 shown]
	s_mov_b32 s7, 0xbfc2375f
	s_mov_b32 s12, 0x7f775887
	;; [unrolled: 1-line block ×11, first 2 shown]
	v_add_f64 v[42:43], v[42:43], v[54:55]
	v_add_f64 v[38:39], v[38:39], -v[98:99]
	v_mul_f64 v[91:92], v[44:45], s[10:11]
	v_mul_f64 v[93:94], v[44:45], s[20:21]
	;; [unrolled: 1-line block ×3, first 2 shown]
	v_add_f64 v[50:51], v[50:51], v[36:37]
	v_mul_f64 v[97:98], v[44:45], s[28:29]
	v_mul_f64 v[44:45], v[44:45], s[30:31]
	v_fma_f64 v[127:128], v[52:53], s[0:1], v[78:79]
	v_fma_f64 v[133:134], v[52:53], s[4:5], v[85:86]
	v_fma_f64 v[85:86], v[52:53], s[4:5], -v[85:86]
	v_fma_f64 v[135:136], v[52:53], s[6:7], v[87:88]
	v_fma_f64 v[137:138], v[52:53], s[12:13], v[89:90]
	;; [unrolled: 1-line block ×3, first 2 shown]
	v_fma_f64 v[89:90], v[52:53], s[12:13], -v[89:90]
	v_fma_f64 v[48:49], v[52:53], s[14:15], -v[48:49]
	;; [unrolled: 1-line block ×4, first 2 shown]
	s_mov_b32 s11, 0x3fed1bb4
	v_add_f64 v[36:37], v[36:37], v[58:59]
	v_add_f64 v[81:82], v[64:65], v[62:63]
	v_mul_f64 v[105:106], v[46:47], s[20:21]
	v_mul_f64 v[107:108], v[46:47], s[28:29]
	;; [unrolled: 1-line block ×5, first 2 shown]
	v_fma_f64 v[78:79], v[42:43], s[4:5], -v[91:92]
	v_add_f64 v[40:41], v[50:51], v[40:41]
	v_mul_f64 v[50:51], v[38:39], s[24:25]
	v_mul_f64 v[38:39], v[38:39], s[10:11]
	v_fma_f64 v[141:142], v[42:43], s[14:15], v[95:96]
	v_fma_f64 v[95:96], v[42:43], s[14:15], -v[95:96]
	v_fma_f64 v[143:144], v[42:43], s[6:7], v[97:98]
	v_fma_f64 v[97:98], v[42:43], s[6:7], -v[97:98]
	v_fma_f64 v[145:146], v[42:43], s[0:1], v[44:45]
	v_add_f64 v[85:86], v[2:3], v[85:86]
	v_add_f64 v[89:90], v[2:3], v[89:90]
	;; [unrolled: 1-line block ×4, first 2 shown]
	v_mul_f64 v[109:110], v[46:47], s[16:17]
	v_mul_f64 v[111:112], v[46:47], s[22:23]
	;; [unrolled: 1-line block ×7, first 2 shown]
	v_fma_f64 v[147:148], v[36:37], s[12:13], v[103:104]
	v_fma_f64 v[103:104], v[36:37], s[12:13], -v[103:104]
	v_add_f64 v[40:41], v[40:41], v[64:65]
	v_fma_f64 v[64:65], v[42:43], s[4:5], v[91:92]
	v_fma_f64 v[91:92], v[42:43], s[12:13], v[93:94]
	v_fma_f64 v[93:94], v[42:43], s[12:13], -v[93:94]
	v_fma_f64 v[42:43], v[42:43], s[0:1], -v[44:45]
	v_add_f64 v[44:45], v[2:3], v[127:128]
	v_add_f64 v[127:128], v[2:3], v[133:134]
	;; [unrolled: 1-line block ×6, first 2 shown]
	v_fma_f64 v[52:53], v[36:37], s[6:7], v[99:100]
	v_fma_f64 v[139:140], v[36:37], s[0:1], v[101:102]
	v_fma_f64 v[101:102], v[36:37], s[0:1], -v[101:102]
	v_fma_f64 v[149:150], v[36:37], s[4:5], v[38:39]
	v_add_f64 v[89:90], v[97:98], v[89:90]
	v_fma_f64 v[97:98], v[74:75], s[0:1], v[109:110]
	v_add_f64 v[40:41], v[40:41], v[62:63]
	v_fma_f64 v[62:63], v[36:37], s[6:7], -v[99:100]
	v_fma_f64 v[99:100], v[36:37], s[14:15], v[50:51]
	v_fma_f64 v[50:51], v[36:37], s[14:15], -v[50:51]
	v_fma_f64 v[36:37], v[36:37], s[4:5], -v[38:39]
	v_add_f64 v[38:39], v[64:65], v[44:45]
	v_add_f64 v[44:45], v[91:92], v[127:128]
	;; [unrolled: 1-line block ×9, first 2 shown]
	v_fma_f64 v[87:88], v[74:75], s[6:7], v[107:108]
	v_fma_f64 v[78:79], v[74:75], s[12:13], -v[105:106]
	v_fma_f64 v[95:96], v[74:75], s[6:7], -v[107:108]
	v_fma_f64 v[107:108], v[74:75], s[14:15], v[111:112]
	v_add_f64 v[40:41], v[40:41], v[60:61]
	v_mul_f64 v[60:61], v[76:77], s[10:11]
	v_fma_f64 v[76:77], v[74:75], s[12:13], v[105:106]
	v_fma_f64 v[105:106], v[74:75], s[0:1], -v[109:110]
	v_fma_f64 v[109:110], v[74:75], s[14:15], -v[111:112]
	v_add_f64 v[38:39], v[52:53], v[38:39]
	v_add_f64 v[44:45], v[99:100], v[44:45]
	v_fma_f64 v[111:112], v[74:75], s[4:5], v[46:47]
	v_add_f64 v[52:53], v[149:150], v[85:86]
	v_add_f64 v[50:51], v[50:51], v[64:65]
	;; [unrolled: 1-line block ×4, first 2 shown]
	v_fma_f64 v[46:47], v[74:75], s[4:5], -v[46:47]
	v_add_f64 v[74:75], v[101:102], v[89:90]
	v_add_f64 v[42:43], v[103:104], v[42:43]
	;; [unrolled: 1-line block ×4, first 2 shown]
	v_fma_f64 v[48:49], v[81:82], s[14:15], v[118:119]
	v_fma_f64 v[62:63], v[81:82], s[0:1], v[121:122]
	;; [unrolled: 1-line block ×3, first 2 shown]
	v_fma_f64 v[89:90], v[81:82], s[0:1], -v[121:122]
	v_fma_f64 v[99:100], v[81:82], s[6:7], v[125:126]
	v_add_f64 v[40:41], v[40:41], v[58:59]
	v_fma_f64 v[103:104], v[81:82], s[4:5], v[60:61]
	v_fma_f64 v[101:102], v[81:82], s[6:7], -v[125:126]
	v_fma_f64 v[60:61], v[81:82], s[4:5], -v[60:61]
	;; [unrolled: 1-line block ×3, first 2 shown]
	v_add_f64 v[38:39], v[76:77], v[38:39]
	v_add_f64 v[44:45], v[87:88], v[44:45]
	v_fma_f64 v[58:59], v[81:82], s[14:15], -v[118:119]
	v_add_f64 v[52:53], v[97:98], v[52:53]
	v_add_f64 v[50:51], v[95:96], v[50:51]
	v_add_f64 v[64:65], v[107:108], v[64:65]
	v_add_f64 v[76:77], v[111:112], v[85:86]
	v_add_f64 v[74:75], v[109:110], v[74:75]
	v_add_f64 v[42:43], v[46:47], v[42:43]
	v_add_f64 v[36:37], v[105:106], v[36:37]
	v_add_f64 v[2:3], v[78:79], v[2:3]
	v_add_f64 v[40:41], v[40:41], v[54:55]
	v_add_f64 v[38:39], v[48:49], v[38:39]
	v_add_f64 v[44:45], v[62:63], v[44:45]
	v_add_f64 v[48:49], v[91:92], v[52:53]
	v_add_f64 v[46:47], v[89:90], v[50:51]
	v_add_f64 v[50:51], v[103:104], v[64:65]
	v_add_f64 v[54:55], v[99:100], v[76:77]
	v_add_f64 v[52:53], v[60:61], v[74:75]
	v_add_f64 v[42:43], v[101:102], v[42:43]
	v_add_f64 v[36:37], v[93:94], v[36:37]
	v_add_f64 v[2:3], v[58:59], v[2:3]
	v_add_f64 v[40:41], v[40:41], v[56:57]
	v_mov_b32_e32 v56, 3
	v_mad_u32_u24 v57, 0x210, v84, 0
	v_lshlrev_b32_sdwa v56, v56, v115 dst_sel:DWORD dst_unused:UNUSED_PAD src0_sel:DWORD src1_sel:BYTE_0
	v_add3_u32 v56, v57, v56, v132
	ds_write2_b64 v56, v[44:45], v[48:49] offset0:12 offset1:18
	ds_write2_b64 v56, v[50:51], v[54:55] offset0:24 offset1:30
	;; [unrolled: 1-line block ×4, first 2 shown]
	ds_write2_b64 v56, v[40:41], v[38:39] offset1:6
	ds_write_b64 v56, v[2:3] offset:480
.LBB0_18:
	s_or_b32 exec_lo, exec_lo, s26
	v_add_nc_u32_e32 v52, 0x84, v114
	v_add_nc_u32_e32 v51, 0xc6, v114
	v_mov_b32_e32 v42, 0xf83f
	v_add_nc_u32_e32 v50, 0x108, v114
	v_add_nc_u32_e32 v53, 0x14a, v114
	v_and_b32_e32 v2, 0xff, v52
	v_add_nc_u32_e32 v43, 0x18c, v114
	v_add_nc_u32_e32 v44, 0x1ce, v114
	v_mul_u32_u24_sdwa v3, v51, v42 dst_sel:DWORD dst_unused:UNUSED_PAD src0_sel:WORD_0 src1_sel:DWORD
	v_add_nc_u32_e32 v45, 0x210, v114
	v_mul_u32_u24_sdwa v133, v50, v42 dst_sel:DWORD dst_unused:UNUSED_PAD src0_sel:WORD_0 src1_sel:DWORD
	v_mov_b32_e32 v115, 0
	v_mul_u32_u24_sdwa v134, v53, v42 dst_sel:DWORD dst_unused:UNUSED_PAD src0_sel:WORD_0 src1_sel:DWORD
	v_mul_lo_u16 v2, 0xf9, v2
	v_mul_u32_u24_sdwa v47, v43, v42 dst_sel:DWORD dst_unused:UNUSED_PAD src0_sel:WORD_0 src1_sel:DWORD
	v_mul_u32_u24_sdwa v48, v44, v42 dst_sel:DWORD dst_unused:UNUSED_PAD src0_sel:WORD_0 src1_sel:DWORD
	v_lshrrev_b32_e32 v3, 22, v3
	v_mul_u32_u24_sdwa v42, v45, v42 dst_sel:DWORD dst_unused:UNUSED_PAD src0_sel:WORD_0 src1_sel:DWORD
	v_lshrrev_b32_e32 v49, 22, v133
	v_lshlrev_b64 v[40:41], 4, v[114:115]
	v_lshrrev_b32_e32 v54, 22, v134
	v_lshrrev_b16 v2, 14, v2
	v_lshrrev_b32_e32 v47, 22, v47
	v_lshrrev_b32_e32 v48, 22, v48
	v_mul_lo_u16 v36, 0x42, v3
	v_lshrrev_b32_e32 v42, 22, v42
	v_mul_lo_u16 v49, 0x42, v49
	v_mul_lo_u16 v54, 0x42, v54
	;; [unrolled: 1-line block ×3, first 2 shown]
	v_add_co_u32 v2, s0, s8, v40
	v_mul_lo_u16 v47, 0x42, v47
	v_mul_lo_u16 v48, 0x42, v48
	v_mov_b32_e32 v46, 4
	v_add_co_ci_u32_e64 v3, s0, s9, v41, s0
	v_sub_nc_u16 v113, v51, v36
	v_mul_lo_u16 v42, 0x42, v42
	v_sub_nc_u16 v135, v50, v49
	v_sub_nc_u16 v136, v53, v54
	;; [unrolled: 1-line block ×4, first 2 shown]
	s_waitcnt lgkmcnt(0)
	s_barrier
	v_sub_nc_u16 v129, v52, v37
	buffer_gl0_inv
	global_load_dwordx4 v[36:39], v[2:3], off offset:960
	v_lshlrev_b32_sdwa v2, v46, v113 dst_sel:DWORD dst_unused:UNUSED_PAD src0_sel:DWORD src1_sel:WORD_0
	v_sub_nc_u16 v139, v45, v42
	v_lshlrev_b32_sdwa v42, v46, v135 dst_sel:DWORD dst_unused:UNUSED_PAD src0_sel:DWORD src1_sel:WORD_0
	v_lshlrev_b32_sdwa v43, v46, v136 dst_sel:DWORD dst_unused:UNUSED_PAD src0_sel:DWORD src1_sel:WORD_0
	v_lshlrev_b32_sdwa v44, v46, v137 dst_sel:DWORD dst_unused:UNUSED_PAD src0_sel:DWORD src1_sel:WORD_0
	v_lshlrev_b32_sdwa v45, v46, v138 dst_sel:DWORD dst_unused:UNUSED_PAD src0_sel:DWORD src1_sel:WORD_0
	v_lshlrev_b32_sdwa v3, v46, v129 dst_sel:DWORD dst_unused:UNUSED_PAD src0_sel:DWORD src1_sel:BYTE_0
	v_lshlrev_b32_sdwa v78, v46, v139 dst_sel:DWORD dst_unused:UNUSED_PAD src0_sel:DWORD src1_sel:WORD_0
	s_clause 0x6
	global_load_dwordx4 v[46:49], v2, s[8:9] offset:960
	global_load_dwordx4 v[54:57], v42, s[8:9] offset:960
	;; [unrolled: 1-line block ×7, first 2 shown]
	ds_read2_b64 v[89:92], v80 offset0:82 offset1:148
	ds_read2_b64 v[93:96], v131 offset0:66 offset1:132
	;; [unrolled: 1-line block ×8, first 2 shown]
	ds_read_b64 v[78:79], v130
	ds_read_b64 v[118:119], v131 offset:8976
	v_lshlrev_b32_e32 v114, 1, v114
	v_lshrrev_b32_e32 v149, 23, v133
	v_lshrrev_b32_e32 v150, 23, v134
	s_waitcnt vmcnt(0) lgkmcnt(0)
	s_barrier
	v_lshlrev_b64 v[2:3], 4, v[114:115]
	v_lshlrev_b32_e32 v114, 1, v120
	v_mov_b32_e32 v120, 3
	buffer_gl0_inv
	s_mov_b32 s5, 0xbfebb67a
	v_add_co_u32 v42, s0, s8, v2
	v_lshlrev_b32_sdwa v2, v120, v113 dst_sel:DWORD dst_unused:UNUSED_PAD src0_sel:DWORD src1_sel:WORD_0
	v_lshlrev_b32_sdwa v147, v120, v135 dst_sel:DWORD dst_unused:UNUSED_PAD src0_sel:DWORD src1_sel:WORD_0
	;; [unrolled: 1-line block ×3, first 2 shown]
	v_lshlrev_b64 v[44:45], 4, v[114:115]
	v_add_co_ci_u32_e64 v43, s0, s9, v3, s0
	v_lshlrev_b32_sdwa v151, v120, v137 dst_sel:DWORD dst_unused:UNUSED_PAD src0_sel:DWORD src1_sel:WORD_0
	v_lshlrev_b32_sdwa v152, v120, v138 dst_sel:DWORD dst_unused:UNUSED_PAD src0_sel:DWORD src1_sel:WORD_0
	;; [unrolled: 1-line block ×3, first 2 shown]
	v_add3_u32 v154, 0, v2, v132
	v_add3_u32 v155, 0, v147, v132
	;; [unrolled: 1-line block ×3, first 2 shown]
	v_lshlrev_b32_sdwa v129, v120, v129 dst_sel:DWORD dst_unused:UNUSED_PAD src0_sel:DWORD src1_sel:BYTE_0
	v_add3_u32 v151, 0, v151, v132
	v_add3_u32 v152, 0, v152, v132
	v_add_co_u32 v44, s0, s8, v44
	v_add_co_ci_u32_e64 v45, s0, s9, v45, s0
	s_mov_b32 s0, 0xe8584caa
	s_mov_b32 s1, 0x3febb67a
	;; [unrolled: 1-line block ×3, first 2 shown]
	v_mul_f64 v[2:3], v[89:90], v[38:39]
	v_mul_f64 v[113:114], v[91:92], v[38:39]
	;; [unrolled: 1-line block ×18, first 2 shown]
	v_fma_f64 v[2:3], v[24:25], v[36:37], -v[2:3]
	v_fma_f64 v[24:25], v[26:27], v[36:37], -v[113:114]
	v_add3_u32 v113, 0, v153, v132
	v_fma_f64 v[26:27], v[28:29], v[54:55], -v[135:136]
	v_fma_f64 v[28:29], v[30:31], v[58:59], -v[137:138]
	;; [unrolled: 1-line block ×5, first 2 shown]
	v_fma_f64 v[66:67], v[89:90], v[36:37], v[147:148]
	v_fma_f64 v[36:37], v[91:92], v[36:37], v[38:39]
	v_fma_f64 v[22:23], v[22:23], v[46:47], -v[133:134]
	v_fma_f64 v[38:39], v[99:100], v[46:47], v[48:49]
	v_fma_f64 v[48:49], v[107:108], v[58:59], v[60:61]
	;; [unrolled: 1-line block ×6, first 2 shown]
	v_fma_f64 v[20:21], v[20:21], v[85:86], -v[145:146]
	v_fma_f64 v[58:59], v[118:119], v[81:82], v[83:84]
	v_add3_u32 v64, 0, v129, v132
	v_add_nc_u32_e32 v89, 0x800, v154
	v_add_f64 v[2:3], v[0:1], -v[2:3]
	v_add_f64 v[24:25], v[4:5], -v[24:25]
	v_add_nc_u32_e32 v90, 0x1000, v155
	v_add_nc_u32_e32 v99, 0x800, v64
	v_add_f64 v[26:27], v[10:11], -v[26:27]
	v_add_f64 v[28:29], v[12:13], -v[28:29]
	v_add_f64 v[30:31], v[14:15], -v[30:31]
	v_add_f64 v[32:33], v[16:17], -v[32:33]
	v_add_f64 v[34:35], v[18:19], -v[34:35]
	v_add_f64 v[62:63], v[78:79], -v[66:67]
	v_add_f64 v[36:37], v[93:94], -v[36:37]
	v_add_f64 v[22:23], v[8:9], -v[22:23]
	v_add_f64 v[38:39], v[101:102], -v[38:39]
	v_add_f64 v[48:49], v[109:110], -v[48:49]
	v_add_f64 v[60:61], v[95:96], -v[60:61]
	v_add_f64 v[46:47], v[103:104], -v[46:47]
	v_add_f64 v[54:55], v[111:112], -v[54:55]
	v_add_f64 v[56:57], v[125:126], -v[56:57]
	v_add_f64 v[20:21], v[6:7], -v[20:21]
	v_add_f64 v[58:59], v[127:128], -v[58:59]
	v_add_nc_u32_e32 v91, 0x1000, v156
	v_add_nc_u32_e32 v92, 0x1800, v151
	v_fma_f64 v[0:1], v[0:1], 2.0, -v[2:3]
	v_fma_f64 v[4:5], v[4:5], 2.0, -v[24:25]
	v_add_nc_u32_e32 v97, 0x1800, v152
	v_add_nc_u32_e32 v98, 0x2000, v113
	v_fma_f64 v[10:11], v[10:11], 2.0, -v[26:27]
	v_fma_f64 v[12:13], v[12:13], 2.0, -v[28:29]
	;; [unrolled: 1-line block ×16, first 2 shown]
	ds_write2_b64 v131, v[0:1], v[2:3] offset1:66
	ds_write2_b64 v131, v[4:5], v[24:25] offset0:132 offset1:198
	ds_write2_b64 v89, v[8:9], v[22:23] offset0:140 offset1:206
	;; [unrolled: 1-line block ×8, first 2 shown]
	s_waitcnt lgkmcnt(0)
	s_barrier
	buffer_gl0_inv
	ds_read2_b64 v[0:3], v73 offset0:74 offset1:140
	ds_read2_b64 v[4:7], v68 offset0:86 offset1:152
	;; [unrolled: 1-line block ×8, first 2 shown]
	ds_read_b64 v[113:114], v130
	ds_read_b64 v[122:123], v131 offset:8976
	s_waitcnt lgkmcnt(0)
	s_barrier
	buffer_gl0_inv
	ds_write2_b64 v131, v[64:65], v[62:63] offset1:66
	ds_write2_b64 v131, v[66:67], v[36:37] offset0:132 offset1:198
	ds_write2_b64 v99, v[87:88], v[60:61] offset0:8 offset1:74
	;; [unrolled: 1-line block ×8, first 2 shown]
	v_mul_lo_u16 v58, 0x84, v149
	v_mul_lo_u16 v60, 0x84, v150
	v_mov_b32_e32 v59, 5
	s_waitcnt lgkmcnt(0)
	s_barrier
	v_sub_nc_u16 v66, v50, v58
	buffer_gl0_inv
	s_clause 0x1
	global_load_dwordx4 v[32:35], v[42:43], off offset:2032
	global_load_dwordx4 v[36:39], v[42:43], off offset:2016
	v_sub_nc_u16 v67, v53, v60
	s_clause 0x1
	global_load_dwordx4 v[46:49], v[44:45], off offset:2032
	global_load_dwordx4 v[54:57], v[44:45], off offset:2016
	v_lshlrev_b32_sdwa v62, v59, v66 dst_sel:DWORD dst_unused:UNUSED_PAD src0_sel:DWORD src1_sel:WORD_0
	v_lshlrev_b32_sdwa v66, v120, v66 dst_sel:DWORD dst_unused:UNUSED_PAD src0_sel:DWORD src1_sel:WORD_0
	;; [unrolled: 1-line block ×3, first 2 shown]
	s_clause 0x3
	global_load_dwordx4 v[58:61], v62, s[8:9] offset:2016
	global_load_dwordx4 v[62:65], v62, s[8:9] offset:2032
	;; [unrolled: 1-line block ×4, first 2 shown]
	ds_read2_b64 v[85:88], v73 offset0:74 offset1:140
	ds_read2_b64 v[89:92], v68 offset0:86 offset1:152
	v_lshlrev_b32_sdwa v67, v120, v67 dst_sel:DWORD dst_unused:UNUSED_PAD src0_sel:DWORD src1_sel:WORD_0
	ds_read2_b64 v[93:96], v70 offset0:78 offset1:144
	ds_read2_b64 v[97:100], v71 offset0:90 offset1:156
	v_add3_u32 v158, 0, v66, v132
	v_add3_u32 v159, 0, v67, v132
	ds_read2_b64 v[101:104], v131 offset0:66 offset1:132
	ds_read2_b64 v[105:108], v80 offset0:82 offset1:148
	;; [unrolled: 1-line block ×4, first 2 shown]
	ds_read_b64 v[66:67], v130
	ds_read_b64 v[78:79], v131 offset:8976
	s_waitcnt vmcnt(0) lgkmcnt(0)
	v_add_nc_u32_e32 v160, 0x1800, v158
	s_barrier
	v_add_nc_u32_e32 v161, 0x1800, v159
	buffer_gl0_inv
	v_mul_f64 v[128:129], v[91:92], v[34:35]
	v_mul_f64 v[124:125], v[87:88], v[38:39]
	;; [unrolled: 1-line block ×24, first 2 shown]
	v_fma_f64 v[2:3], v[2:3], v[36:37], -v[124:125]
	v_fma_f64 v[6:7], v[6:7], v[32:33], -v[128:129]
	;; [unrolled: 1-line block ×10, first 2 shown]
	v_fma_f64 v[91:92], v[91:92], v[32:33], v[132:133]
	v_fma_f64 v[32:33], v[99:100], v[32:33], v[34:35]
	;; [unrolled: 1-line block ×3, first 2 shown]
	v_fma_f64 v[4:5], v[4:5], v[74:75], -v[154:155]
	v_fma_f64 v[56:57], v[122:123], v[81:82], -v[156:157]
	v_fma_f64 v[87:88], v[87:88], v[36:37], v[126:127]
	v_fma_f64 v[93:94], v[93:94], v[54:55], v[136:137]
	;; [unrolled: 1-line block ×9, first 2 shown]
	v_add_f64 v[60:61], v[113:114], v[2:3]
	v_add_f64 v[62:63], v[2:3], v[6:7]
	;; [unrolled: 1-line block ×6, first 2 shown]
	v_add_f64 v[2:3], v[2:3], -v[6:7]
	v_add_f64 v[126:127], v[26:27], v[30:31]
	v_add_f64 v[107:108], v[20:21], v[24:25]
	v_add_f64 v[124:125], v[22:23], v[26:27]
	v_add_f64 v[122:123], v[109:110], v[34:35]
	v_add_f64 v[136:137], v[0:1], v[4:5]
	v_add_f64 v[132:133], v[4:5], v[56:57]
	v_add_f64 v[76:77], v[87:88], v[91:92]
	v_add_f64 v[64:65], v[87:88], -v[91:92]
	v_add_f64 v[89:90], v[93:94], v[97:98]
	v_add_f64 v[99:100], v[36:37], -v[32:33]
	v_add_f64 v[105:106], v[103:104], v[36:37]
	v_add_f64 v[36:37], v[36:37], v[32:33]
	v_add_f64 v[120:121], v[34:35], -v[38:39]
	v_add_f64 v[34:35], v[34:35], v[38:39]
	v_add_f64 v[128:129], v[46:47], -v[48:49]
	v_add_f64 v[134:135], v[111:112], v[46:47]
	v_add_f64 v[46:47], v[46:47], v[48:49]
	v_add_f64 v[138:139], v[54:55], -v[58:59]
	v_add_f64 v[140:141], v[85:86], v[54:55]
	v_add_f64 v[54:55], v[54:55], v[58:59]
	;; [unrolled: 1-line block ×3, first 2 shown]
	v_fma_f64 v[60:61], v[62:63], -0.5, v[113:114]
	v_add_f64 v[83:84], v[93:94], -v[97:98]
	v_fma_f64 v[8:9], v[81:82], -0.5, v[8:9]
	v_add_f64 v[74:75], v[66:67], v[87:88]
	v_add_f64 v[87:88], v[101:102], v[93:94]
	;; [unrolled: 1-line block ×3, first 2 shown]
	v_fma_f64 v[10:11], v[95:96], -0.5, v[10:11]
	v_fma_f64 v[20:21], v[118:119], -0.5, v[20:21]
	;; [unrolled: 1-line block ×4, first 2 shown]
	v_add_f64 v[12:13], v[12:13], -v[16:17]
	v_add_f64 v[14:15], v[14:15], -v[18:19]
	;; [unrolled: 1-line block ×5, first 2 shown]
	v_fma_f64 v[66:67], v[76:77], -0.5, v[66:67]
	v_add_f64 v[16:17], v[78:79], v[16:17]
	v_fma_f64 v[76:77], v[89:90], -0.5, v[101:102]
	v_fma_f64 v[36:37], v[36:37], -0.5, v[103:104]
	;; [unrolled: 1-line block ×5, first 2 shown]
	v_add_f64 v[78:79], v[134:135], v[48:49]
	v_add_f64 v[48:49], v[136:137], v[56:57]
	;; [unrolled: 1-line block ×3, first 2 shown]
	v_fma_f64 v[58:59], v[64:65], s[0:1], v[60:61]
	v_fma_f64 v[60:61], v[64:65], s[4:5], v[60:61]
	v_fma_f64 v[81:82], v[83:84], s[0:1], v[8:9]
	v_fma_f64 v[8:9], v[83:84], s[4:5], v[8:9]
	v_add_f64 v[18:19], v[93:94], v[18:19]
	v_fma_f64 v[83:84], v[99:100], s[0:1], v[10:11]
	v_fma_f64 v[10:11], v[99:100], s[4:5], v[10:11]
	v_add_f64 v[28:29], v[107:108], v[28:29]
	v_fma_f64 v[85:86], v[120:121], s[0:1], v[20:21]
	v_fma_f64 v[20:21], v[120:121], s[4:5], v[20:21]
	v_add_f64 v[62:63], v[74:75], v[91:92]
	v_add_f64 v[74:75], v[87:88], v[97:98]
	;; [unrolled: 1-line block ×3, first 2 shown]
	v_fma_f64 v[87:88], v[128:129], s[0:1], v[22:23]
	v_fma_f64 v[22:23], v[128:129], s[4:5], v[22:23]
	;; [unrolled: 1-line block ×16, first 2 shown]
	ds_write2_b64 v131, v[6:7], v[16:17] offset1:66
	ds_write2_b64 v69, v[58:59], v[60:61] offset0:4 offset1:136
	ds_write2_b64 v69, v[81:82], v[8:9] offset0:70 offset1:202
	ds_write2_b64 v70, v[18:19], v[83:84] offset0:12 offset1:144
	ds_write_b64 v131, v[10:11] offset:5280
	ds_write2_b64 v70, v[28:29], v[85:86] offset0:78 offset1:210
	ds_write_b64 v131, v[20:21] offset:5808
	ds_write2_b64 v160, v[30:31], v[87:88] offset0:24 offset1:156
	;; [unrolled: 2-line block ×3, first 2 shown]
	ds_write_b64 v159, v[0:1] offset:8448
	s_waitcnt lgkmcnt(0)
	s_barrier
	buffer_gl0_inv
	ds_read2_b64 v[8:11], v73 offset0:74 offset1:140
	ds_read2_b64 v[28:31], v68 offset0:86 offset1:152
	;; [unrolled: 1-line block ×8, first 2 shown]
	ds_read_b64 v[46:47], v130
	ds_read_b64 v[48:49], v131 offset:8976
	v_add_f64 v[32:33], v[105:106], v[32:33]
	v_add_f64 v[38:39], v[122:123], v[38:39]
	s_waitcnt lgkmcnt(0)
	s_barrier
	buffer_gl0_inv
	ds_write2_b64 v69, v[64:65], v[66:67] offset0:4 offset1:136
	ds_write2_b64 v131, v[62:63], v[74:75] offset1:66
	ds_write2_b64 v69, v[91:92], v[76:77] offset0:70 offset1:202
	ds_write2_b64 v70, v[32:33], v[93:94] offset0:12 offset1:144
	ds_write_b64 v131, v[36:37] offset:5280
	ds_write2_b64 v70, v[38:39], v[95:96] offset0:78 offset1:210
	ds_write_b64 v131, v[34:35] offset:5808
	;; [unrolled: 2-line block ×4, first 2 shown]
	s_waitcnt lgkmcnt(0)
	s_barrier
	buffer_gl0_inv
	s_and_saveexec_b32 s6, vcc_lo
	s_cbranch_execz .LBB0_20
; %bb.19:
	v_lshlrev_b32_e32 v114, 1, v53
	v_mul_hi_u32 v128, 0xa57eb503, v52
	v_add_nc_u32_e32 v94, 0x1400, v131
	v_add_nc_u32_e32 v98, 0x800, v131
	;; [unrolled: 1-line block ×3, first 2 shown]
	v_lshlrev_b64 v[32:33], 4, v[114:115]
	v_lshlrev_b32_e32 v114, 1, v50
	v_add_nc_u32_e32 v106, 0x1c00, v131
	v_add_nc_u32_e32 v110, 0x400, v131
	;; [unrolled: 1-line block ×3, first 2 shown]
	v_mul_hi_u32 v132, 0xa57eb503, v53
	v_add_co_u32 v34, vcc_lo, s8, v32
	v_add_co_ci_u32_e32 v35, vcc_lo, s9, v33, vcc_lo
	v_lshlrev_b64 v[32:33], 4, v[114:115]
	v_add_co_u32 v36, vcc_lo, 0x1860, v34
	v_add_co_ci_u32_e32 v37, vcc_lo, 0, v35, vcc_lo
	v_add_co_u32 v34, vcc_lo, 0x1800, v34
	v_add_co_ci_u32_e32 v35, vcc_lo, 0, v35, vcc_lo
	;; [unrolled: 2-line block ×3, first 2 shown]
	v_lshlrev_b32_e32 v114, 1, v51
	v_add_co_u32 v62, vcc_lo, 0x1860, v54
	v_add_co_ci_u32_e32 v63, vcc_lo, 0, v55, vcc_lo
	v_add_co_u32 v58, vcc_lo, 0x1800, v54
	v_add_co_ci_u32_e32 v59, vcc_lo, 0, v55, vcc_lo
	v_add_co_u32 v54, vcc_lo, 0x1860, v44
	v_add_co_ci_u32_e32 v55, vcc_lo, 0, v45, vcc_lo
	v_add_co_u32 v44, vcc_lo, 0x1800, v44
	v_add_co_ci_u32_e32 v45, vcc_lo, 0, v45, vcc_lo
	v_lshlrev_b64 v[74:75], 4, v[114:115]
	v_add_co_u32 v70, vcc_lo, 0x1860, v42
	v_add_co_ci_u32_e32 v71, vcc_lo, 0, v43, vcc_lo
	v_add_co_u32 v66, vcc_lo, 0x1800, v42
	v_lshlrev_b32_e32 v114, 1, v52
	v_add_co_ci_u32_e32 v67, vcc_lo, 0, v43, vcc_lo
	s_clause 0x7
	global_load_dwordx4 v[32:35], v[34:35], off offset:96
	global_load_dwordx4 v[36:39], v[36:37], off offset:16
	;; [unrolled: 1-line block ×8, first 2 shown]
	v_add_co_u32 v76, vcc_lo, s8, v74
	v_add_co_ci_u32_e32 v77, vcc_lo, s9, v75, vcc_lo
	v_lshlrev_b64 v[74:75], 4, v[114:115]
	v_add_co_u32 v78, vcc_lo, 0x1860, v76
	v_add_co_ci_u32_e32 v79, vcc_lo, 0, v77, vcc_lo
	v_add_nc_u32_e32 v114, 0xc00, v131
	v_add_co_u32 v80, vcc_lo, s8, v74
	v_add_co_ci_u32_e32 v81, vcc_lo, s9, v75, vcc_lo
	v_add_co_u32 v74, vcc_lo, 0x1800, v76
	v_add_co_ci_u32_e32 v75, vcc_lo, 0, v77, vcc_lo
	v_add_co_u32 v86, vcc_lo, 0x1860, v80
	v_add_co_ci_u32_e32 v87, vcc_lo, 0, v81, vcc_lo
	v_add_co_u32 v82, vcc_lo, 0x1800, v80
	v_add_co_ci_u32_e32 v83, vcc_lo, 0, v81, vcc_lo
	s_clause 0x3
	global_load_dwordx4 v[74:77], v[74:75], off offset:96
	global_load_dwordx4 v[78:81], v[78:79], off offset:16
	global_load_dwordx4 v[82:85], v[82:83], off offset:96
	global_load_dwordx4 v[86:89], v[86:87], off offset:16
	ds_read2_b64 v[90:93], v131 offset0:66 offset1:132
	ds_read_b64 v[124:125], v131 offset:8976
	ds_read_b64 v[126:127], v130
	v_add_co_u32 v148, vcc_lo, s2, v116
	v_mul_hi_u32 v130, 0xa57eb503, v51
	v_add_co_ci_u32_e32 v149, vcc_lo, s3, v117, vcc_lo
	ds_read2_b64 v[94:97], v94 offset0:86 offset1:152
	ds_read2_b64 v[98:101], v98 offset0:74 offset1:140
	;; [unrolled: 1-line block ×7, first 2 shown]
	v_lshrrev_b32_e32 v114, 8, v128
	v_mul_hi_u32 v131, 0xa57eb503, v50
	v_add_co_u32 v128, vcc_lo, v148, v40
	v_lshrrev_b32_e32 v133, 8, v130
	v_mad_u32_u24 v114, 0x318, v114, v52
	v_add_co_ci_u32_e32 v129, vcc_lo, v149, v41, vcc_lo
	v_add_co_u32 v130, vcc_lo, 0x1800, v128
	v_lshlrev_b64 v[40:41], 4, v[114:115]
	v_lshrrev_b32_e32 v134, 8, v131
	v_mad_u32_u24 v114, 0x318, v133, v51
	v_add_co_ci_u32_e32 v131, vcc_lo, 0, v129, vcc_lo
	v_lshrrev_b32_e32 v136, 8, v132
	v_add_co_u32 v132, vcc_lo, 0x3000, v128
	v_add_co_ci_u32_e32 v133, vcc_lo, 0, v129, vcc_lo
	v_lshlrev_b64 v[51:52], 4, v[114:115]
	v_mad_u32_u24 v114, 0x318, v134, v50
	v_add_co_u32 v134, vcc_lo, v148, v40
	v_add_co_ci_u32_e32 v135, vcc_lo, v149, v41, vcc_lo
	v_lshlrev_b64 v[40:41], 4, v[114:115]
	v_mad_u32_u24 v114, 0x318, v136, v53
	v_add_co_u32 v136, vcc_lo, 0x1800, v134
	v_add_co_ci_u32_e32 v137, vcc_lo, 0, v135, vcc_lo
	v_add_co_u32 v138, vcc_lo, 0x3000, v134
	v_add_co_ci_u32_e32 v139, vcc_lo, 0, v135, vcc_lo
	;; [unrolled: 2-line block ×3, first 2 shown]
	v_lshlrev_b64 v[50:51], 4, v[114:115]
	v_add_co_u32 v114, vcc_lo, 0x1800, v140
	v_add_co_ci_u32_e32 v115, vcc_lo, 0, v141, vcc_lo
	v_add_co_u32 v142, vcc_lo, v148, v40
	v_add_co_ci_u32_e32 v143, vcc_lo, v149, v41, vcc_lo
	;; [unrolled: 2-line block ×7, first 2 shown]
	s_waitcnt vmcnt(9) lgkmcnt(1)
	v_mul_f64 v[40:41], v[116:117], v[44:45]
	s_waitcnt vmcnt(8) lgkmcnt(0)
	v_mul_f64 v[50:51], v[120:121], v[56:57]
	v_mul_f64 v[44:45], v[12:13], v[44:45]
	;; [unrolled: 1-line block ×3, first 2 shown]
	s_waitcnt vmcnt(5)
	v_mul_f64 v[56:57], v[100:101], v[68:69]
	s_waitcnt vmcnt(4)
	v_mul_f64 v[150:151], v[96:97], v[72:73]
	v_mul_f64 v[68:69], v[10:11], v[68:69]
	;; [unrolled: 1-line block ×11, first 2 shown]
	v_fma_f64 v[12:13], v[12:13], v[42:43], -v[40:41]
	v_fma_f64 v[20:21], v[20:21], v[54:55], -v[50:51]
	v_fma_f64 v[40:41], v[42:43], v[116:117], v[44:45]
	v_fma_f64 v[42:43], v[54:55], v[120:121], v[52:53]
	v_fma_f64 v[10:11], v[10:11], v[66:67], -v[56:57]
	v_fma_f64 v[30:31], v[30:31], v[70:71], -v[150:151]
	v_fma_f64 v[44:45], v[66:67], v[100:101], v[68:69]
	v_fma_f64 v[50:51], v[70:71], v[96:97], v[72:73]
	s_waitcnt vmcnt(3)
	v_mul_f64 v[52:53], v[102:103], v[76:77]
	v_mul_f64 v[56:57], v[16:17], v[76:77]
	s_waitcnt vmcnt(1)
	v_mul_f64 v[68:69], v[118:119], v[84:85]
	s_waitcnt vmcnt(0)
	v_mul_f64 v[70:71], v[122:123], v[88:89]
	v_mul_f64 v[72:73], v[14:15], v[84:85]
	;; [unrolled: 1-line block ×5, first 2 shown]
	v_fma_f64 v[28:29], v[28:29], v[32:33], -v[156:157]
	v_fma_f64 v[32:33], v[32:33], v[94:95], v[34:35]
	v_fma_f64 v[34:35], v[36:37], v[124:125], v[38:39]
	v_fma_f64 v[26:27], v[26:27], v[62:63], -v[162:163]
	v_fma_f64 v[38:39], v[62:63], v[108:109], v[64:65]
	v_fma_f64 v[48:49], v[48:49], v[36:37], -v[158:159]
	v_fma_f64 v[18:19], v[18:19], v[58:59], -v[160:161]
	v_add_f64 v[64:65], v[12:13], v[20:21]
	v_add_f64 v[62:63], v[40:41], v[90:91]
	v_fma_f64 v[36:37], v[58:59], v[104:105], v[60:61]
	v_add_f64 v[80:81], v[0:1], v[12:13]
	v_add_f64 v[96:97], v[10:11], v[30:31]
	;; [unrolled: 1-line block ×5, first 2 shown]
	v_fma_f64 v[56:57], v[74:75], v[102:103], v[56:57]
	v_fma_f64 v[68:69], v[14:15], v[82:83], -v[68:69]
	v_fma_f64 v[70:71], v[22:23], v[86:87], -v[70:71]
	v_fma_f64 v[72:73], v[82:83], v[118:119], v[72:73]
	v_fma_f64 v[76:77], v[86:87], v[122:123], v[76:77]
	v_fma_f64 v[22:23], v[16:17], v[74:75], -v[52:53]
	v_fma_f64 v[66:67], v[78:79], v[106:107], v[66:67]
	v_fma_f64 v[52:53], v[24:25], v[78:79], -v[54:55]
	v_add_f64 v[58:59], v[12:13], -v[20:21]
	v_add_f64 v[40:41], v[40:41], -v[42:43]
	v_add_f64 v[54:55], v[32:33], v[98:99]
	v_add_f64 v[84:85], v[10:11], -v[30:31]
	v_add_f64 v[14:15], v[46:47], v[10:11]
	v_add_f64 v[24:25], v[32:33], v[34:35]
	v_add_f64 v[82:83], v[32:33], -v[34:35]
	v_add_f64 v[12:13], v[42:43], v[62:63]
	v_fma_f64 v[62:63], v[64:65], -0.5, v[0:1]
	v_add_f64 v[86:87], v[18:19], -v[26:27]
	v_add_f64 v[32:33], v[36:37], v[38:39]
	v_add_f64 v[100:101], v[36:37], v[112:113]
	;; [unrolled: 1-line block ×3, first 2 shown]
	v_add_f64 v[104:105], v[36:37], -v[38:39]
	v_add_f64 v[36:37], v[6:7], v[18:19]
	v_add_f64 v[10:11], v[80:81], v[20:21]
	;; [unrolled: 1-line block ×5, first 2 shown]
	v_add_f64 v[44:45], v[44:45], -v[50:51]
	v_add_f64 v[18:19], v[56:57], v[66:67]
	v_add_f64 v[80:81], v[22:23], v[52:53]
	v_fma_f64 v[64:65], v[88:89], -0.5, v[126:127]
	v_fma_f64 v[46:47], v[96:97], -0.5, v[46:47]
	v_add_f64 v[74:75], v[28:29], -v[48:49]
	v_add_f64 v[28:29], v[8:9], v[28:29]
	v_fma_f64 v[60:61], v[60:61], -0.5, v[90:91]
	v_add_f64 v[16:17], v[94:95], v[50:51]
	v_add_f64 v[94:95], v[68:69], -v[70:71]
	v_add_f64 v[96:97], v[72:73], v[92:93]
	v_add_f64 v[68:69], v[2:3], v[68:69]
	v_add_f64 v[72:73], v[72:73], -v[76:77]
	v_add_f64 v[20:21], v[34:35], v[54:55]
	;; [unrolled: 3-line block ×3, first 2 shown]
	v_add_f64 v[50:51], v[22:23], -v[52:53]
	v_fma_f64 v[98:99], v[24:25], -0.5, v[98:99]
	v_fma_f64 v[54:55], v[0:1], -0.5, v[2:3]
	v_fma_f64 v[8:9], v[78:79], -0.5, v[8:9]
	v_fma_f64 v[42:43], v[42:43], -0.5, v[92:93]
	v_fma_f64 v[78:79], v[32:33], -0.5, v[112:113]
	v_fma_f64 v[106:107], v[18:19], -0.5, v[110:111]
	v_fma_f64 v[80:81], v[80:81], -0.5, v[4:5]
	v_fma_f64 v[92:93], v[102:103], -0.5, v[6:7]
	v_add_f64 v[14:15], v[14:15], v[30:31]
	v_fma_f64 v[32:33], v[84:85], s[4:5], v[64:65]
	v_fma_f64 v[30:31], v[44:45], s[0:1], v[46:47]
	v_add_f64 v[18:19], v[28:29], v[48:49]
	v_add_f64 v[0:1], v[36:37], v[26:27]
	v_fma_f64 v[28:29], v[84:85], s[0:1], v[64:65]
	v_fma_f64 v[26:27], v[44:45], s[4:5], v[46:47]
	;; [unrolled: 1-line block ×6, first 2 shown]
	v_add_f64 v[2:3], v[38:39], v[100:101]
	v_add_f64 v[40:41], v[76:77], v[96:97]
	;; [unrolled: 1-line block ×4, first 2 shown]
	v_fma_f64 v[58:59], v[72:73], s[0:1], v[54:55]
	v_fma_f64 v[54:55], v[72:73], s[4:5], v[54:55]
	;; [unrolled: 1-line block ×4, first 2 shown]
	v_add_f64 v[36:37], v[66:67], v[88:89]
	v_fma_f64 v[64:65], v[50:51], s[4:5], v[106:107]
	v_fma_f64 v[62:63], v[90:91], s[0:1], v[80:81]
	;; [unrolled: 1-line block ×12, first 2 shown]
	v_add_co_u32 v8, vcc_lo, 0x3000, v148
	v_add_co_ci_u32_e32 v9, vcc_lo, 0, v149, vcc_lo
	global_store_dwordx4 v[128:129], v[14:17], off
	global_store_dwordx4 v[128:129], v[10:13], off offset:1056
	global_store_dwordx4 v[130:131], v[30:33], off offset:192
	;; [unrolled: 1-line block ×5, first 2 shown]
	global_store_dwordx4 v[134:135], v[38:41], off
	global_store_dwordx4 v[136:137], v[58:61], off offset:192
	global_store_dwordx4 v[138:139], v[54:57], off offset:384
	global_store_dwordx4 v[140:141], v[34:37], off
	global_store_dwordx4 v[114:115], v[62:65], off offset:192
	global_store_dwordx4 v[144:145], v[50:53], off offset:384
	;; [unrolled: 3-line block ×4, first 2 shown]
.LBB0_20:
	s_endpgm
	.section	.rodata,"a",@progbits
	.p2align	6, 0x0
	.amdhsa_kernel fft_rtc_fwd_len1188_factors_6_11_2_3_3_wgs_198_tpt_66_halfLds_dp_ip_CI_unitstride_sbrr_dirReg
		.amdhsa_group_segment_fixed_size 0
		.amdhsa_private_segment_fixed_size 0
		.amdhsa_kernarg_size 88
		.amdhsa_user_sgpr_count 6
		.amdhsa_user_sgpr_private_segment_buffer 1
		.amdhsa_user_sgpr_dispatch_ptr 0
		.amdhsa_user_sgpr_queue_ptr 0
		.amdhsa_user_sgpr_kernarg_segment_ptr 1
		.amdhsa_user_sgpr_dispatch_id 0
		.amdhsa_user_sgpr_flat_scratch_init 0
		.amdhsa_user_sgpr_private_segment_size 0
		.amdhsa_wavefront_size32 1
		.amdhsa_uses_dynamic_stack 0
		.amdhsa_system_sgpr_private_segment_wavefront_offset 0
		.amdhsa_system_sgpr_workgroup_id_x 1
		.amdhsa_system_sgpr_workgroup_id_y 0
		.amdhsa_system_sgpr_workgroup_id_z 0
		.amdhsa_system_sgpr_workgroup_info 0
		.amdhsa_system_vgpr_workitem_id 0
		.amdhsa_next_free_vgpr 197
		.amdhsa_next_free_sgpr 36
		.amdhsa_reserve_vcc 1
		.amdhsa_reserve_flat_scratch 0
		.amdhsa_float_round_mode_32 0
		.amdhsa_float_round_mode_16_64 0
		.amdhsa_float_denorm_mode_32 3
		.amdhsa_float_denorm_mode_16_64 3
		.amdhsa_dx10_clamp 1
		.amdhsa_ieee_mode 1
		.amdhsa_fp16_overflow 0
		.amdhsa_workgroup_processor_mode 1
		.amdhsa_memory_ordered 1
		.amdhsa_forward_progress 0
		.amdhsa_shared_vgpr_count 0
		.amdhsa_exception_fp_ieee_invalid_op 0
		.amdhsa_exception_fp_denorm_src 0
		.amdhsa_exception_fp_ieee_div_zero 0
		.amdhsa_exception_fp_ieee_overflow 0
		.amdhsa_exception_fp_ieee_underflow 0
		.amdhsa_exception_fp_ieee_inexact 0
		.amdhsa_exception_int_div_zero 0
	.end_amdhsa_kernel
	.text
.Lfunc_end0:
	.size	fft_rtc_fwd_len1188_factors_6_11_2_3_3_wgs_198_tpt_66_halfLds_dp_ip_CI_unitstride_sbrr_dirReg, .Lfunc_end0-fft_rtc_fwd_len1188_factors_6_11_2_3_3_wgs_198_tpt_66_halfLds_dp_ip_CI_unitstride_sbrr_dirReg
                                        ; -- End function
	.section	.AMDGPU.csdata,"",@progbits
; Kernel info:
; codeLenInByte = 15432
; NumSgprs: 38
; NumVgprs: 197
; ScratchSize: 0
; MemoryBound: 1
; FloatMode: 240
; IeeeMode: 1
; LDSByteSize: 0 bytes/workgroup (compile time only)
; SGPRBlocks: 4
; VGPRBlocks: 24
; NumSGPRsForWavesPerEU: 38
; NumVGPRsForWavesPerEU: 197
; Occupancy: 4
; WaveLimiterHint : 1
; COMPUTE_PGM_RSRC2:SCRATCH_EN: 0
; COMPUTE_PGM_RSRC2:USER_SGPR: 6
; COMPUTE_PGM_RSRC2:TRAP_HANDLER: 0
; COMPUTE_PGM_RSRC2:TGID_X_EN: 1
; COMPUTE_PGM_RSRC2:TGID_Y_EN: 0
; COMPUTE_PGM_RSRC2:TGID_Z_EN: 0
; COMPUTE_PGM_RSRC2:TIDIG_COMP_CNT: 0
	.text
	.p2alignl 6, 3214868480
	.fill 48, 4, 3214868480
	.type	__hip_cuid_3915e2d85561aff5,@object ; @__hip_cuid_3915e2d85561aff5
	.section	.bss,"aw",@nobits
	.globl	__hip_cuid_3915e2d85561aff5
__hip_cuid_3915e2d85561aff5:
	.byte	0                               ; 0x0
	.size	__hip_cuid_3915e2d85561aff5, 1

	.ident	"AMD clang version 19.0.0git (https://github.com/RadeonOpenCompute/llvm-project roc-6.4.0 25133 c7fe45cf4b819c5991fe208aaa96edf142730f1d)"
	.section	".note.GNU-stack","",@progbits
	.addrsig
	.addrsig_sym __hip_cuid_3915e2d85561aff5
	.amdgpu_metadata
---
amdhsa.kernels:
  - .args:
      - .actual_access:  read_only
        .address_space:  global
        .offset:         0
        .size:           8
        .value_kind:     global_buffer
      - .offset:         8
        .size:           8
        .value_kind:     by_value
      - .actual_access:  read_only
        .address_space:  global
        .offset:         16
        .size:           8
        .value_kind:     global_buffer
      - .actual_access:  read_only
        .address_space:  global
        .offset:         24
        .size:           8
        .value_kind:     global_buffer
      - .offset:         32
        .size:           8
        .value_kind:     by_value
      - .actual_access:  read_only
        .address_space:  global
        .offset:         40
        .size:           8
        .value_kind:     global_buffer
      - .actual_access:  read_only
        .address_space:  global
        .offset:         48
        .size:           8
        .value_kind:     global_buffer
      - .offset:         56
        .size:           4
        .value_kind:     by_value
      - .actual_access:  read_only
        .address_space:  global
        .offset:         64
        .size:           8
        .value_kind:     global_buffer
      - .actual_access:  read_only
        .address_space:  global
        .offset:         72
        .size:           8
        .value_kind:     global_buffer
      - .address_space:  global
        .offset:         80
        .size:           8
        .value_kind:     global_buffer
    .group_segment_fixed_size: 0
    .kernarg_segment_align: 8
    .kernarg_segment_size: 88
    .language:       OpenCL C
    .language_version:
      - 2
      - 0
    .max_flat_workgroup_size: 198
    .name:           fft_rtc_fwd_len1188_factors_6_11_2_3_3_wgs_198_tpt_66_halfLds_dp_ip_CI_unitstride_sbrr_dirReg
    .private_segment_fixed_size: 0
    .sgpr_count:     38
    .sgpr_spill_count: 0
    .symbol:         fft_rtc_fwd_len1188_factors_6_11_2_3_3_wgs_198_tpt_66_halfLds_dp_ip_CI_unitstride_sbrr_dirReg.kd
    .uniform_work_group_size: 1
    .uses_dynamic_stack: false
    .vgpr_count:     197
    .vgpr_spill_count: 0
    .wavefront_size: 32
    .workgroup_processor_mode: 1
amdhsa.target:   amdgcn-amd-amdhsa--gfx1030
amdhsa.version:
  - 1
  - 2
...

	.end_amdgpu_metadata
